;; amdgpu-corpus repo=ROCm/rocSOLVER kind=compiled arch=gfx906 opt=O3
	.amdgcn_target "amdgcn-amd-amdhsa--gfx906"
	.amdhsa_code_object_version 6
	.section	.text._ZN9rocsolver6v33100L10reset_infoIiiiEEvPT_T0_T1_S4_,"axG",@progbits,_ZN9rocsolver6v33100L10reset_infoIiiiEEvPT_T0_T1_S4_,comdat
	.globl	_ZN9rocsolver6v33100L10reset_infoIiiiEEvPT_T0_T1_S4_ ; -- Begin function _ZN9rocsolver6v33100L10reset_infoIiiiEEvPT_T0_T1_S4_
	.p2align	8
	.type	_ZN9rocsolver6v33100L10reset_infoIiiiEEvPT_T0_T1_S4_,@function
_ZN9rocsolver6v33100L10reset_infoIiiiEEvPT_T0_T1_S4_: ; @_ZN9rocsolver6v33100L10reset_infoIiiiEEvPT_T0_T1_S4_
; %bb.0:
	s_load_dword s7, s[4:5], 0x24
	s_load_dwordx4 s[0:3], s[4:5], 0x8
	s_waitcnt lgkmcnt(0)
	s_and_b32 s3, s7, 0xffff
	s_mul_i32 s6, s6, s3
	v_add_u32_e32 v0, s6, v0
	v_cmp_gt_i32_e32 vcc, s0, v0
	s_and_saveexec_b64 s[6:7], vcc
	s_cbranch_execz .LBB0_2
; %bb.1:
	s_load_dwordx2 s[4:5], s[4:5], 0x0
	v_ashrrev_i32_e32 v1, 31, v0
	v_mul_lo_u32 v2, v0, s2
	v_lshlrev_b64 v[0:1], 2, v[0:1]
	s_waitcnt lgkmcnt(0)
	v_mov_b32_e32 v3, s5
	v_add_co_u32_e32 v0, vcc, s4, v0
	v_addc_co_u32_e32 v1, vcc, v3, v1, vcc
	v_add_u32_e32 v2, s1, v2
	global_store_dword v[0:1], v2, off
.LBB0_2:
	s_endpgm
	.section	.rodata,"a",@progbits
	.p2align	6, 0x0
	.amdhsa_kernel _ZN9rocsolver6v33100L10reset_infoIiiiEEvPT_T0_T1_S4_
		.amdhsa_group_segment_fixed_size 0
		.amdhsa_private_segment_fixed_size 0
		.amdhsa_kernarg_size 280
		.amdhsa_user_sgpr_count 6
		.amdhsa_user_sgpr_private_segment_buffer 1
		.amdhsa_user_sgpr_dispatch_ptr 0
		.amdhsa_user_sgpr_queue_ptr 0
		.amdhsa_user_sgpr_kernarg_segment_ptr 1
		.amdhsa_user_sgpr_dispatch_id 0
		.amdhsa_user_sgpr_flat_scratch_init 0
		.amdhsa_user_sgpr_private_segment_size 0
		.amdhsa_uses_dynamic_stack 0
		.amdhsa_system_sgpr_private_segment_wavefront_offset 0
		.amdhsa_system_sgpr_workgroup_id_x 1
		.amdhsa_system_sgpr_workgroup_id_y 0
		.amdhsa_system_sgpr_workgroup_id_z 0
		.amdhsa_system_sgpr_workgroup_info 0
		.amdhsa_system_vgpr_workitem_id 0
		.amdhsa_next_free_vgpr 4
		.amdhsa_next_free_sgpr 8
		.amdhsa_reserve_vcc 1
		.amdhsa_reserve_flat_scratch 0
		.amdhsa_float_round_mode_32 0
		.amdhsa_float_round_mode_16_64 0
		.amdhsa_float_denorm_mode_32 3
		.amdhsa_float_denorm_mode_16_64 3
		.amdhsa_dx10_clamp 1
		.amdhsa_ieee_mode 1
		.amdhsa_fp16_overflow 0
		.amdhsa_exception_fp_ieee_invalid_op 0
		.amdhsa_exception_fp_denorm_src 0
		.amdhsa_exception_fp_ieee_div_zero 0
		.amdhsa_exception_fp_ieee_overflow 0
		.amdhsa_exception_fp_ieee_underflow 0
		.amdhsa_exception_fp_ieee_inexact 0
		.amdhsa_exception_int_div_zero 0
	.end_amdhsa_kernel
	.section	.text._ZN9rocsolver6v33100L10reset_infoIiiiEEvPT_T0_T1_S4_,"axG",@progbits,_ZN9rocsolver6v33100L10reset_infoIiiiEEvPT_T0_T1_S4_,comdat
.Lfunc_end0:
	.size	_ZN9rocsolver6v33100L10reset_infoIiiiEEvPT_T0_T1_S4_, .Lfunc_end0-_ZN9rocsolver6v33100L10reset_infoIiiiEEvPT_T0_T1_S4_
                                        ; -- End function
	.set _ZN9rocsolver6v33100L10reset_infoIiiiEEvPT_T0_T1_S4_.num_vgpr, 4
	.set _ZN9rocsolver6v33100L10reset_infoIiiiEEvPT_T0_T1_S4_.num_agpr, 0
	.set _ZN9rocsolver6v33100L10reset_infoIiiiEEvPT_T0_T1_S4_.numbered_sgpr, 8
	.set _ZN9rocsolver6v33100L10reset_infoIiiiEEvPT_T0_T1_S4_.num_named_barrier, 0
	.set _ZN9rocsolver6v33100L10reset_infoIiiiEEvPT_T0_T1_S4_.private_seg_size, 0
	.set _ZN9rocsolver6v33100L10reset_infoIiiiEEvPT_T0_T1_S4_.uses_vcc, 1
	.set _ZN9rocsolver6v33100L10reset_infoIiiiEEvPT_T0_T1_S4_.uses_flat_scratch, 0
	.set _ZN9rocsolver6v33100L10reset_infoIiiiEEvPT_T0_T1_S4_.has_dyn_sized_stack, 0
	.set _ZN9rocsolver6v33100L10reset_infoIiiiEEvPT_T0_T1_S4_.has_recursion, 0
	.set _ZN9rocsolver6v33100L10reset_infoIiiiEEvPT_T0_T1_S4_.has_indirect_call, 0
	.section	.AMDGPU.csdata,"",@progbits
; Kernel info:
; codeLenInByte = 108
; TotalNumSgprs: 12
; NumVgprs: 4
; ScratchSize: 0
; MemoryBound: 0
; FloatMode: 240
; IeeeMode: 1
; LDSByteSize: 0 bytes/workgroup (compile time only)
; SGPRBlocks: 1
; VGPRBlocks: 0
; NumSGPRsForWavesPerEU: 12
; NumVGPRsForWavesPerEU: 4
; Occupancy: 10
; WaveLimiterHint : 0
; COMPUTE_PGM_RSRC2:SCRATCH_EN: 0
; COMPUTE_PGM_RSRC2:USER_SGPR: 6
; COMPUTE_PGM_RSRC2:TRAP_HANDLER: 0
; COMPUTE_PGM_RSRC2:TGID_X_EN: 1
; COMPUTE_PGM_RSRC2:TGID_Y_EN: 0
; COMPUTE_PGM_RSRC2:TGID_Z_EN: 0
; COMPUTE_PGM_RSRC2:TIDIG_COMP_CNT: 0
	.section	.text._ZN9rocsolver6v33100L12stein_kernelIffPfEEviPT0_lS4_lPiS4_lS5_lS5_lT1_iilS5_lS5_S4_S5_S3_S3_,"axG",@progbits,_ZN9rocsolver6v33100L12stein_kernelIffPfEEviPT0_lS4_lPiS4_lS5_lS5_lT1_iilS5_lS5_S4_S5_S3_S3_,comdat
	.globl	_ZN9rocsolver6v33100L12stein_kernelIffPfEEviPT0_lS4_lPiS4_lS5_lS5_lT1_iilS5_lS5_S4_S5_S3_S3_ ; -- Begin function _ZN9rocsolver6v33100L12stein_kernelIffPfEEviPT0_lS4_lPiS4_lS5_lS5_lT1_iilS5_lS5_S4_S5_S3_S3_
	.p2align	8
	.type	_ZN9rocsolver6v33100L12stein_kernelIffPfEEviPT0_lS4_lPiS4_lS5_lS5_lT1_iilS5_lS5_S4_S5_S3_S3_,@function
_ZN9rocsolver6v33100L12stein_kernelIffPfEEviPT0_lS4_lPiS4_lS5_lS5_lT1_iilS5_lS5_S4_S5_S3_S3_: ; @_ZN9rocsolver6v33100L12stein_kernelIffPfEEviPT0_lS4_lPiS4_lS5_lS5_lT1_iilS5_lS5_S4_S5_S3_S3_
; %bb.0:
	s_load_dwordx16 s[8:23], s[4:5], 0x8
	s_mov_b32 s6, s7
	s_ashr_i32 s7, s7, 31
	s_lshl_b64 s[2:3], s[6:7], 2
	s_waitcnt lgkmcnt(0)
	s_add_u32 s0, s16, s2
	s_addc_u32 s1, s17, s3
	s_load_dword s48, s[0:1], 0x0
	s_waitcnt lgkmcnt(0)
	s_cmp_lt_i32 s48, 1
	s_cbranch_scc1 .LBB1_244
; %bb.1:
	s_load_dwordx8 s[24:31], s[4:5], 0x70
	s_load_dwordx4 s[44:47], s[4:5], 0x90
                                        ; implicit-def: $vgpr41 : SGPR spill to VGPR lane
	s_mov_b64 s[0:1], 0
	v_writelane_b32 v41, s2, 0
	v_writelane_b32 v41, s3, 1
	s_waitcnt lgkmcnt(0)
	s_cmp_eq_u64 s[26:27], 0
	v_writelane_b32 v41, s0, 2
	v_writelane_b32 v41, s1, 3
	s_cbranch_scc1 .LBB1_3
; %bb.2:
	s_mul_i32 s0, s28, s7
	s_mul_hi_u32 s1, s28, s6
	s_add_i32 s0, s1, s0
	s_mul_i32 s1, s29, s6
	s_add_i32 s1, s0, s1
	s_mul_i32 s0, s28, s6
	s_lshl_b64 s[0:1], s[0:1], 2
	s_add_u32 s0, s26, s0
	s_addc_u32 s1, s27, s1
	v_writelane_b32 v41, s0, 2
	v_writelane_b32 v41, s1, 3
.LBB1_3:
	v_cmp_eq_u32_e64 s[0:1], 0, v0
	s_and_saveexec_b64 s[2:3], s[0:1]
; %bb.4:
	v_mov_b32_e32 v1, 0
	ds_write_b32 v1, v1
; %bb.5:
	s_or_b64 exec, exec, s[2:3]
	v_readlane_b32 s2, v41, 2
	v_readlane_b32 s3, v41, 3
	s_cmp_lg_u64 s[2:3], 0
	s_cselect_b64 s[16:17], -1, 0
	v_cmp_gt_u32_e32 vcc, s48, v0
	s_mov_b64 s[26:27], 0
	s_and_b64 s[2:3], vcc, s[16:17]
	v_lshlrev_b32_e32 v5, 2, v0
	s_and_saveexec_b64 s[28:29], s[2:3]
	s_cbranch_execz .LBB1_8
; %bb.6:
	v_readlane_b32 s2, v41, 2
	v_readlane_b32 s3, v41, 3
	v_mov_b32_e32 v2, s3
	v_add_co_u32_e32 v1, vcc, s2, v5
	v_mov_b32_e32 v3, 0
	v_addc_co_u32_e32 v2, vcc, 0, v2, vcc
	v_mov_b32_e32 v4, v0
.LBB1_7:                                ; =>This Inner Loop Header: Depth=1
	v_add_u32_e32 v4, 0x100, v4
	global_store_dword v[1:2], v3, off
	v_add_co_u32_e32 v1, vcc, 0x400, v1
	v_cmp_le_i32_e64 s[2:3], s48, v4
	s_or_b64 s[26:27], s[2:3], s[26:27]
	v_addc_co_u32_e32 v2, vcc, 0, v2, vcc
	s_andn2_b64 exec, exec, s[26:27]
	s_cbranch_execnz .LBB1_7
.LBB1_8:
	v_writelane_b32 v41, s24, 4
	v_writelane_b32 v41, s25, 5
	;; [unrolled: 1-line block ×8, first 2 shown]
	s_or_b64 exec, exec, s[28:29]
	s_load_dwordx8 s[36:43], s[4:5], 0x48
	s_mov_b32 s27, 0
	s_mov_b32 s49, s27
	v_mov_b32_e32 v2, 0
	s_waitcnt lgkmcnt(0)
	s_mul_i32 s3, s36, s7
	s_mul_hi_u32 s24, s36, s6
	s_mul_i32 s25, s37, s6
	s_add_i32 s3, s24, s3
	s_mul_i32 s2, s36, s6
	s_add_i32 s3, s3, s25
	s_lshl_b64 s[2:3], s[2:3], 2
	s_add_u32 s33, s22, s2
	s_addc_u32 s34, s23, s3
	s_lshl_b64 s[2:3], s[48:49], 2
	s_add_u32 s2, s33, s2
	s_addc_u32 s3, s34, s3
	v_writelane_b32 v41, s2, 12
	v_writelane_b32 v41, s3, 13
	s_nop 3
	global_load_dword v1, v2, s[2:3] offset:-4
	s_waitcnt vmcnt(0)
	v_cmp_gt_i32_e32 vcc, 1, v1
	s_cbranch_vccnz .LBB1_242
; %bb.9:
	s_load_dword s28, s[4:5], 0x0
	s_mul_i32 s2, s10, s7
	s_mul_hi_u32 s3, s10, s6
	s_add_i32 s2, s3, s2
	s_mul_i32 s3, s11, s6
	s_add_i32 s3, s2, s3
	s_mul_i32 s2, s10, s6
	s_waitcnt lgkmcnt(0)
	s_ashr_i32 s29, s28, 31
	s_lshl_b64 s[2:3], s[2:3], 2
	s_add_u32 s26, s8, s2
	s_load_dwordx2 s[36:37], s[4:5], 0x68
	s_load_dwordx2 s[52:53], s[4:5], 0xa0
	s_addc_u32 s49, s9, s3
	s_mul_i32 s2, s14, s7
	s_mul_hi_u32 s3, s14, s6
	s_add_i32 s2, s3, s2
	s_mul_i32 s3, s15, s6
	s_add_i32 s3, s2, s3
	s_mul_i32 s2, s14, s6
	s_lshl_b64 s[2:3], s[2:3], 2
	s_add_u32 s82, s12, s2
	s_addc_u32 s23, s13, s3
	s_mul_i32 s2, s20, s7
	s_mul_hi_u32 s3, s20, s6
	s_waitcnt lgkmcnt(0)
	v_div_scale_f32 v3, s[8:9], s53, s53, 1.0
	s_add_i32 s2, s3, s2
	s_mul_i32 s3, s21, s6
	s_add_i32 s3, s2, s3
	s_mul_i32 s2, s20, s6
	s_lshl_b64 s[2:3], s[2:3], 2
	s_add_u32 s24, s18, s2
	s_addc_u32 s25, s19, s3
	s_mul_i32 s2, s40, s7
	s_mul_hi_u32 s3, s40, s6
	s_add_i32 s2, s3, s2
	s_mul_i32 s3, s41, s6
	v_div_scale_f32 v4, vcc, 1.0, s53, 1.0
	s_add_i32 s3, s2, s3
	s_mul_i32 s2, s40, s6
	s_lshl_b64 s[2:3], s[2:3], 2
	s_add_u32 s69, s38, s2
	s_mul_i32 s4, s28, 5
	s_addc_u32 s2, s39, s3
	v_writelane_b32 v41, s2, 14
	s_mul_hi_i32 s3, s4, s6
	s_mul_i32 s2, s4, s6
	s_lshl_b64 s[2:3], s[2:3], 2
	v_readlane_b32 s8, v41, 4
	s_add_u32 s18, s44, s2
	s_mul_hi_i32 s5, s28, s6
	s_mul_i32 s4, s28, s6
	v_readlane_b32 s9, v41, 5
	s_addc_u32 s19, s45, s3
	s_lshl_b64 s[4:5], s[4:5], 2
	s_mov_b64 s[40:41], s[8:9]
	s_add_u32 s20, s46, s4
	s_mul_i32 s7, s40, s7
	s_mul_hi_u32 s8, s40, s6
	s_addc_u32 s21, s47, s5
	s_add_i32 s7, s8, s7
	s_mul_i32 s8, s41, s6
	v_rcp_f32_e32 v6, v3
	s_add_i32 s7, s7, s8
	s_mul_i32 s6, s40, s6
	s_ashr_i32 s5, s36, 31
	s_lshl_b64 s[6:7], s[6:7], 2
	s_mov_b32 s4, s36
	s_add_u32 s6, s42, s6
	s_addc_u32 s7, s43, s7
	s_lshl_b64 s[4:5], s[4:5], 2
	v_fma_f32 v7, -v3, v6, 1.0
	s_add_u32 s36, s6, s4
	s_mul_i32 s6, s28, 3
	v_fmac_f32_e32 v6, v7, v6
	s_mov_b32 s4, s6
	v_mul_f32_e32 v7, v4, v6
	v_readlane_b32 s10, v41, 6
	v_readlane_b32 s11, v41, 7
	;; [unrolled: 1-line block ×6, first 2 shown]
	s_addc_u32 s58, s7, s5
	s_ashr_i32 s7, s6, 31
	v_writelane_b32 v41, s4, 15
	v_fma_f32 v8, -v3, v7, v4
	v_writelane_b32 v41, s5, 16
	s_lshl_b64 s[4:5], s[6:7], 2
	v_fmac_f32_e32 v7, v8, v6
	s_add_u32 s38, s18, s4
	v_fma_f32 v3, -v3, v7, v4
	v_div_fmas_f32 v3, v3, v6, v7
	s_addc_u32 s39, s19, s5
	s_lshl_b64 s[6:7], s[28:29], 3
	s_sub_u32 s59, 0, s6
	s_subb_u32 s22, 0, s7
	s_add_u32 s40, s38, s59
	s_addc_u32 s41, s39, s22
	s_lshl_b64 s[8:9], s[28:29], 2
	s_add_u32 s42, s40, s8
	s_addc_u32 s43, s41, s9
	s_add_u32 s46, s42, s6
	s_addc_u32 s47, s43, s7
	s_and_b64 s[54:55], s[0:1], s[16:17]
	s_add_u32 s7, s82, 4
	v_writelane_b32 v41, s7, 17
	v_writelane_b32 v41, s23, 18
	s_addc_u32 s7, s23, 0
	v_writelane_b32 v41, s7, 19
	s_add_u32 s7, s26, 4
	v_writelane_b32 v41, s7, 20
	s_addc_u32 s7, s49, 0
	s_add_u32 s2, s2, s4
	v_max_f32_e64 v4, s52, s52
	s_addc_u32 s3, s3, s5
	v_max_f32_e32 v21, 0, v4
	v_div_fixup_f32 v23, v3, s53, 1.0
	v_mov_b32_e32 v4, s19
	v_add_co_u32_e32 v3, vcc, s18, v5
	s_add_u32 s2, s44, s2
	v_add_u32_e32 v7, s28, v0
	v_addc_co_u32_e32 v4, vcc, 0, v4, vcc
	s_addc_u32 s3, s45, s3
	v_ashrrev_i32_e32 v8, 31, v7
	v_add_u32_e32 v22, 8, v5
	v_mov_b32_e32 v6, s3
	v_add_co_u32_e32 v5, vcc, s2, v5
	v_lshlrev_b64 v[7:8], 2, v[7:8]
	v_addc_co_u32_e32 v6, vcc, 0, v6, vcc
	s_lshl_b32 s29, s28, 1
	v_writelane_b32 v41, s7, 21
	v_mov_b32_e32 v9, s19
	v_add_co_u32_e32 v7, vcc, s18, v7
	s_add_u32 s44, s2, 8
	v_addc_co_u32_e32 v8, vcc, v9, v8, vcc
	s_addc_u32 s45, s3, 0
	v_writelane_b32 v41, s26, 22
	s_movk_i32 s6, 0x80
	v_add_co_u32_e32 v7, vcc, 4, v7
	s_add_u32 s56, s18, 4
	s_mov_b32 s60, 0xff800000
	v_writelane_b32 v41, s49, 23
	v_addc_co_u32_e32 v8, vcc, 0, v8, vcc
	s_addc_u32 s57, s19, 0
	v_mov_b32_e32 v24, 0x260
	v_mov_b32_e32 v25, 1.0
	s_mov_b32 s61, 0x41dfffff
	v_mov_b32_e32 v26, 1
	v_mov_b32_e32 v27, 8
	v_cmp_gt_u32_e64 s[2:3], s6, v0
	s_brev_b32 s23, -2
	s_mov_b32 s30, 0x41200000
	s_movk_i32 s31, 0x400
	s_mov_b32 s35, 0
	v_cmp_gt_u32_e64 s[4:5], 64, v0
	v_cmp_gt_i32_e64 s[6:7], s28, v0
	s_mov_b32 s62, s27
	v_writelane_b32 v41, s82, 24
                                        ; implicit-def: $vgpr28
                                        ; implicit-def: $vgpr30
                                        ; implicit-def: $vgpr31
                                        ; implicit-def: $vgpr29
                                        ; implicit-def: $sgpr65
	v_writelane_b32 v41, s69, 25
	s_branch .LBB1_12
.LBB1_10:                               ;   in Loop: Header=BB1_12 Depth=1
	v_readlane_b32 s8, v41, 12
	v_readlane_b32 s9, v41, 13
	s_mov_b32 s35, s16
	v_readlane_b32 s26, v41, 22
	v_readlane_b32 s49, v41, 23
	;; [unrolled: 1-line block ×4, first 2 shown]
	global_load_dword v1, v2, s[8:9] offset:-4
.LBB1_11:                               ;   in Loop: Header=BB1_12 Depth=1
	s_add_i32 s62, s62, 1
	s_waitcnt vmcnt(0)
	v_cmp_ge_i32_e32 vcc, s62, v1
	s_cbranch_vccnz .LBB1_242
.LBB1_12:                               ; =>This Loop Header: Depth=1
                                        ;     Child Loop BB1_17 Depth 2
                                        ;     Child Loop BB1_21 Depth 2
                                        ;       Child Loop BB1_31 Depth 3
                                        ;       Child Loop BB1_34 Depth 3
	;; [unrolled: 1-line block ×5, first 2 shown]
                                        ;         Child Loop BB1_103 Depth 4
                                        ;         Child Loop BB1_106 Depth 4
	;; [unrolled: 1-line block ×4, first 2 shown]
                                        ;           Child Loop BB1_122 Depth 5
                                        ;         Child Loop BB1_136 Depth 4
                                        ;           Child Loop BB1_137 Depth 5
                                        ;           Child Loop BB1_139 Depth 5
                                        ;         Child Loop BB1_144 Depth 4
                                        ;       Child Loop BB1_185 Depth 3
                                        ;       Child Loop BB1_222 Depth 3
	;; [unrolled: 1-line block ×4, first 2 shown]
	s_mov_b32 s64, 0
	s_cmp_eq_u32 s62, 0
	s_mov_b64 s[8:9], 0
	v_readlane_b32 s10, v41, 14
	s_cbranch_scc1 .LBB1_14
; %bb.13:                               ;   in Loop: Header=BB1_12 Depth=1
	s_mov_b32 s63, s27
	s_lshl_b64 s[8:9], s[62:63], 2
	s_add_u32 s8, s69, s8
	s_addc_u32 s9, s10, s9
	global_load_dword v9, v2, s[8:9] offset:-4
	s_mov_b64 s[8:9], s[62:63]
	s_waitcnt vmcnt(0)
	v_readfirstlane_b32 s64, v9
.LBB1_14:                               ;   in Loop: Header=BB1_12 Depth=1
	s_lshl_b64 s[8:9], s[8:9], 2
	s_add_u32 s8, s69, s8
	s_addc_u32 s9, s10, s9
	global_load_dword v9, v2, s[8:9]
	s_not_b32 s8, s64
	s_waitcnt vmcnt(0)
	v_readfirstlane_b32 s66, v9
	s_add_i32 s68, s8, s66
	s_sub_i32 s63, s66, s64
	s_cmp_lt_i32 s68, 1
	s_cselect_b64 s[70:71], -1, 0
	s_and_b64 vcc, exec, s[70:71]
	s_cbranch_vccnz .LBB1_19
; %bb.15:                               ;   in Loop: Header=BB1_12 Depth=1
	s_ashr_i32 s65, s64, 31
	s_lshl_b64 s[10:11], s[64:65], 2
	s_add_u32 s8, s26, s10
	s_addc_u32 s9, s49, s11
	s_add_u32 s14, s82, s10
	v_readlane_b32 s13, v41, 18
	s_addc_u32 s15, s13, s11
	s_ashr_i32 s67, s66, 31
	s_lshl_b64 s[16:17], s[66:67], 2
	s_add_u32 s50, s26, s16
	s_addc_u32 s51, s49, s17
	s_add_i32 s12, s66, -2
	s_add_u32 s16, s82, s16
	s_addc_u32 s17, s13, s17
	global_load_dword v10, v2, s[8:9]
	global_load_dword v9, v2, s[14:15]
	global_load_dword v11, v2, s[50:51] offset:-4
	global_load_dword v12, v2, s[16:17] offset:-8
	s_cmp_ge_i32 s64, s12
	s_waitcnt vmcnt(2)
	v_add_f32_e64 v10, |v10|, |v9|
	s_waitcnt vmcnt(0)
	v_add_f32_e64 v11, |v11|, |v12|
	v_cmp_lt_f32_e32 vcc, v10, v11
	v_cndmask_b32_e32 v29, v10, v11, vcc
	s_cbranch_scc1 .LBB1_18
; %bb.16:                               ;   in Loop: Header=BB1_12 Depth=1
	v_readlane_b32 s8, v41, 17
	s_add_u32 s8, s8, s10
	v_readlane_b32 s9, v41, 19
	s_addc_u32 s9, s9, s11
	v_readlane_b32 s13, v41, 20
	s_add_u32 s10, s13, s10
	v_readlane_b32 s13, v41, 21
	s_addc_u32 s11, s13, s11
	s_mov_b32 s13, s64
.LBB1_17:                               ;   Parent Loop BB1_12 Depth=1
                                        ; =>  This Inner Loop Header: Depth=2
	global_load_dword v10, v2, s[10:11]
	s_add_i32 s13, s13, 1
	s_waitcnt vmcnt(0)
	v_add_f32_e64 v10, |v9|, |v10|
	global_load_dword v9, v2, s[8:9]
	s_add_u32 s8, s8, 4
	s_addc_u32 s9, s9, 0
	s_add_u32 s10, s10, 4
	s_addc_u32 s11, s11, 0
	s_cmp_lt_i32 s13, s12
	s_waitcnt vmcnt(0)
	v_add_f32_e64 v10, v10, |v9|
	v_cmp_lt_f32_e32 vcc, v29, v10
	v_cndmask_b32_e32 v29, v29, v10, vcc
	s_cbranch_scc1 .LBB1_17
.LBB1_18:                               ;   in Loop: Header=BB1_12 Depth=1
	v_cvt_f64_u32_e32 v[9:10], s63
	s_mov_b32 s10, 0x9999999a
	s_mov_b32 s11, 0x3fb99999
	v_mul_f32_e32 v31, 0x3a83126f, v29
	v_div_scale_f64 v[11:12], s[8:9], v[9:10], v[9:10], s[10:11]
	s_mov_b32 s8, 0
	s_brev_b32 s9, 8
	s_mov_b32 s65, s35
	v_rcp_f64_e32 v[13:14], v[11:12]
	v_fma_f64 v[15:16], -v[11:12], v[13:14], 1.0
	v_fma_f64 v[13:14], v[13:14], v[15:16], v[13:14]
	v_div_scale_f64 v[15:16], vcc, s[10:11], v[9:10], s[10:11]
	v_fma_f64 v[17:18], -v[11:12], v[13:14], 1.0
	v_fma_f64 v[13:14], v[13:14], v[17:18], v[13:14]
	v_mul_f64 v[17:18], v[15:16], v[13:14]
	v_fma_f64 v[11:12], -v[11:12], v[17:18], v[15:16]
	v_div_fmas_f64 v[11:12], v[11:12], v[13:14], v[17:18]
	v_div_fixup_f64 v[9:10], v[11:12], v[9:10], s[10:11]
	v_cmp_gt_f64_e32 vcc, s[8:9], v[9:10]
	s_and_b64 s[8:9], vcc, exec
	s_cselect_b32 s8, 0x100, 0
	v_ldexp_f64 v[9:10], v[9:10], s8
	s_cselect_b32 s8, 0xffffff80, 0
	v_rsq_f64_e32 v[11:12], v[9:10]
	v_cmp_class_f64_e32 vcc, v[9:10], v24
	v_mul_f64 v[13:14], v[9:10], v[11:12]
	v_mul_f64 v[11:12], v[11:12], 0.5
	v_fma_f64 v[15:16], -v[11:12], v[13:14], 0.5
	v_fma_f64 v[13:14], v[13:14], v[15:16], v[13:14]
	v_fma_f64 v[11:12], v[11:12], v[15:16], v[11:12]
	v_fma_f64 v[15:16], -v[13:14], v[13:14], v[9:10]
	v_fma_f64 v[13:14], v[15:16], v[11:12], v[13:14]
	v_fma_f64 v[15:16], -v[13:14], v[13:14], v[9:10]
	v_fma_f64 v[11:12], v[15:16], v[11:12], v[13:14]
	v_ldexp_f64 v[11:12], v[11:12], s8
	v_cndmask_b32_e32 v10, v12, v10, vcc
	v_cndmask_b32_e32 v9, v11, v9, vcc
	v_cvt_f32_f64_e32 v30, v[9:10]
.LBB1_19:                               ;   in Loop: Header=BB1_12 Depth=1
	s_cmp_ge_i32 s35, s48
	s_cbranch_scc1 .LBB1_11
; %bb.20:                               ;   in Loop: Header=BB1_12 Depth=1
	s_ashr_i32 s67, s66, 31
	s_lshl_b64 s[12:13], s[66:67], 2
	s_add_u32 s72, s26, s12
	s_addc_u32 s73, s49, s13
	v_readlane_b32 s12, v41, 15
	v_readlane_b32 s13, v41, 16
	s_add_i32 s12, s68, s12
	s_ashr_i32 s13, s12, 31
	s_lshl_b64 s[12:13], s[12:13], 2
	s_add_u32 s74, s18, s12
	s_mov_b32 s69, s27
	v_cvt_f32_u32_e32 v1, s63
	v_add_u32_e32 v9, s64, v0
	s_addc_u32 s75, s19, s13
	s_lshl_b64 s[12:13], s[68:69], 2
	v_ashrrev_i32_e32 v10, 31, v9
	s_add_u32 s76, s20, s12
	v_lshlrev_b64 v[11:12], 2, v[9:10]
	s_addc_u32 s77, s21, s13
	s_add_i32 s67, s68, -1
	s_add_u32 s78, s38, s12
	v_mul_f32_e32 v32, v29, v1
	v_mov_b32_e32 v1, s49
	v_add_co_u32_e32 v9, vcc, s26, v11
	s_addc_u32 s79, s39, s13
	v_addc_co_u32_e32 v10, vcc, v1, v12, vcc
	v_readlane_b32 s14, v41, 18
	s_cmp_gt_u32 s63, 2
	v_mov_b32_e32 v1, s14
	v_add_co_u32_e32 v11, vcc, s82, v11
	v_cmp_ge_i32_e64 s[8:9], s68, v0
	v_cmp_gt_i32_e64 s[10:11], s68, v0
	v_cmp_gt_u32_e64 s[12:13], s63, v0
	s_cselect_b64 s[80:81], -1, 0
	v_addc_co_u32_e32 v12, vcc, v1, v12, vcc
	s_mov_b32 s49, 0
	s_sub_i32 s69, 0, s64
	s_mul_i32 s50, s37, s35
	v_mov_b32_e32 v1, v28
	s_mov_b32 s82, s35
.LBB1_21:                               ;   Parent Loop BB1_12 Depth=1
                                        ; =>  This Loop Header: Depth=2
                                        ;       Child Loop BB1_31 Depth 3
                                        ;       Child Loop BB1_34 Depth 3
	;; [unrolled: 1-line block ×5, first 2 shown]
                                        ;         Child Loop BB1_103 Depth 4
                                        ;         Child Loop BB1_106 Depth 4
	;; [unrolled: 1-line block ×4, first 2 shown]
                                        ;           Child Loop BB1_122 Depth 5
                                        ;         Child Loop BB1_136 Depth 4
                                        ;           Child Loop BB1_137 Depth 5
                                        ;           Child Loop BB1_139 Depth 5
                                        ;         Child Loop BB1_144 Depth 4
                                        ;       Child Loop BB1_185 Depth 3
                                        ;       Child Loop BB1_222 Depth 3
	;; [unrolled: 1-line block ×4, first 2 shown]
	s_ashr_i32 s83, s82, 31
	s_lshl_b64 s[16:17], s[82:83], 2
	s_add_u32 s14, s33, s16
	s_addc_u32 s15, s34, s17
	global_load_dword v13, v2, s[14:15]
	s_mov_b64 s[14:15], -1
	s_waitcnt vmcnt(0)
	v_add_u32_e32 v13, -1, v13
	v_cmp_ne_u32_e32 vcc, s62, v13
	s_cbranch_vccnz .LBB1_25
; %bb.22:                               ;   in Loop: Header=BB1_21 Depth=2
	s_add_u32 s14, s24, s16
	s_addc_u32 s15, s25, s17
	global_load_dword v28, v2, s[14:15]
	s_mov_b64 s[14:15], -1
	s_and_b64 vcc, exec, s[70:71]
	s_cbranch_vccnz .LBB1_26
; %bb.23:                               ;   in Loop: Header=BB1_21 Depth=2
	s_and_b64 vcc, exec, s[14:15]
	s_cbranch_vccnz .LBB1_29
.LBB1_24:                               ;   in Loop: Header=BB1_21 Depth=2
	s_and_saveexec_b64 s[16:17], s[6:7]
	s_cbranch_execnz .LBB1_236
	s_branch .LBB1_240
.LBB1_25:                               ;   in Loop: Header=BB1_21 Depth=2
	s_mov_b32 s16, s82
	v_mov_b32_e32 v28, v1
                                        ; implicit-def: $sgpr49
                                        ; implicit-def: $sgpr50
	s_and_b64 vcc, exec, s[14:15]
	s_cbranch_vccz .LBB1_241
	s_branch .LBB1_10
.LBB1_26:                               ;   in Loop: Header=BB1_21 Depth=2
	s_and_saveexec_b64 s[14:15], s[0:1]
	s_cbranch_execz .LBB1_28
; %bb.27:                               ;   in Loop: Header=BB1_21 Depth=2
	global_store_dword v2, v25, s[18:19]
.LBB1_28:                               ;   in Loop: Header=BB1_21 Depth=2
	s_or_b64 exec, exec, s[14:15]
	s_waitcnt vmcnt(0)
	s_barrier
	s_branch .LBB1_24
.LBB1_29:                               ;   in Loop: Header=BB1_21 Depth=2
	s_and_saveexec_b64 s[14:15], s[8:9]
	s_cbranch_execz .LBB1_32
; %bb.30:                               ;   in Loop: Header=BB1_21 Depth=2
	s_mul_i32 s16, s62, s48
	s_add_i32 s16, s82, s16
	v_lshl_or_b32 v13, s16, 8, v0
	v_add_u32_e32 v14, 1, v13
	s_mov_b32 s16, 0x40000001
	v_mul_hi_i32 v15, v14, s16
	v_sub_u32_e32 v16, 0x7ffffffe, v13
	v_sub_u32_e32 v17, 0xf7, v13
	s_mov_b32 s16, 0x7fffff07
	v_lshrrev_b32_e32 v18, 31, v15
	v_ashrrev_i32_e32 v15, 29, v15
	v_add_u32_e32 v15, v15, v18
	v_mul_lo_u32 v15, v15, s23
	v_max_u32_e32 v17, 1, v17
	v_cmp_gt_u32_e32 vcc, s16, v16
	s_mov_b32 s16, 0x7ffffffe
	v_cndmask_b32_e32 v16, v17, v16, vcc
	v_cmp_ne_u32_e32 vcc, s16, v13
	v_sub_u32_e32 v13, v14, v15
	v_max_i32_e32 v17, 1, v13
	v_mov_b32_e32 v14, v4
	v_cndmask_b32_e32 v16, 1, v16, vcc
	s_mov_b64 s[16:17], 0
	v_mov_b32_e32 v13, v3
	v_mov_b32_e32 v15, v0
.LBB1_31:                               ;   Parent Loop BB1_12 Depth=1
                                        ;     Parent Loop BB1_21 Depth=2
                                        ; =>    This Inner Loop Header: Depth=3
	s_mov_b32 s26, 0x5e4789c9
	s_mov_b32 s51, 0x4f7a09cd
	v_mul_hi_i32 v18, v17, s26
	v_mul_hi_i32 v19, v16, s51
	s_mov_b32 s83, 0xbc8f
	s_mov_b32 s84, 0x9ef4
	v_lshrrev_b32_e32 v20, 31, v18
	v_ashrrev_i32_e32 v18, 14, v18
	v_lshrrev_b32_e32 v33, 31, v19
	v_ashrrev_i32_e32 v19, 14, v19
	v_add_u32_e32 v18, v18, v20
	v_add_u32_e32 v19, v19, v33
	v_mul_i32_i24_e32 v20, 0xadc8, v18
	v_mul_i32_i24_e32 v33, 0xce26, v19
	v_sub_u32_e32 v17, v17, v20
	v_sub_u32_e32 v16, v16, v33
	v_mul_lo_u32 v17, v17, s83
	v_mul_lo_u32 v16, v16, s84
	s_movk_i32 s85, 0xf2b9
	s_movk_i32 s86, 0xf131
	v_mad_i32_i24 v17, v18, s85, v17
	v_mad_i32_i24 v16, v19, s86, v16
	v_ashrrev_i32_e32 v18, 31, v17
	v_ashrrev_i32_e32 v19, 31, v16
	v_and_b32_e32 v18, 0x7fffffff, v18
	v_and_b32_e32 v19, 0x7fffff07, v19
	v_add_u32_e32 v17, v18, v17
	v_add_u32_e32 v16, v19, v16
	v_sub_u32_e32 v18, v17, v16
	v_ashrrev_i32_e32 v19, 31, v18
	v_and_b32_e32 v19, 0x7fffffff, v19
	v_add_u32_e32 v18, v19, v18
	v_cvt_f64_i32_e32 v[18:19], v18
	v_add_u32_e32 v15, 0x100, v15
	v_div_scale_f64 v[33:34], s[84:85], s[60:61], s[60:61], v[18:19]
	v_rcp_f64_e32 v[35:36], v[33:34]
	v_fma_f64 v[37:38], -v[33:34], v[35:36], 1.0
	v_fma_f64 v[35:36], v[35:36], v[37:38], v[35:36]
	v_div_scale_f64 v[37:38], vcc, v[18:19], s[60:61], v[18:19]
	v_fma_f64 v[39:40], -v[33:34], v[35:36], 1.0
	v_fma_f64 v[35:36], v[35:36], v[39:40], v[35:36]
	v_mul_f64 v[39:40], v[37:38], v[35:36]
	v_fma_f64 v[33:34], -v[33:34], v[39:40], v[37:38]
	v_div_fmas_f64 v[33:34], v[33:34], v[35:36], v[39:40]
	v_cmp_lt_i32_e32 vcc, s68, v15
	s_or_b64 s[16:17], vcc, s[16:17]
	v_div_fixup_f64 v[18:19], v[33:34], s[60:61], v[18:19]
	v_cvt_f32_f64_e32 v18, v[18:19]
	global_store_dword v[13:14], v18, off
	v_add_co_u32_e32 v13, vcc, 0x400, v13
	v_addc_co_u32_e32 v14, vcc, 0, v14, vcc
	s_andn2_b64 exec, exec, s[16:17]
	s_cbranch_execnz .LBB1_31
.LBB1_32:                               ;   in Loop: Header=BB1_21 Depth=2
	s_or_b64 exec, exec, s[14:15]
	s_and_saveexec_b64 s[84:85], s[10:11]
	s_cbranch_execz .LBB1_35
; %bb.33:                               ;   in Loop: Header=BB1_21 Depth=2
	v_mov_b32_e32 v14, v12
	v_mov_b32_e32 v16, v10
	v_mov_b32_e32 v18, v8
	v_mov_b32_e32 v20, v6
	s_mov_b64 s[86:87], 0
	v_mov_b32_e32 v13, v11
	v_mov_b32_e32 v15, v9
	;; [unrolled: 1-line block ×5, first 2 shown]
.LBB1_34:                               ;   Parent Loop BB1_12 Depth=1
                                        ;     Parent Loop BB1_21 Depth=2
                                        ; =>    This Inner Loop Header: Depth=3
	global_load_dword v34, v[15:16], off
	v_mov_b32_e32 v37, s19
	s_waitcnt vmcnt(0)
	global_store_dword v[19:20], v34, off
	global_load_dword v36, v[13:14], off
	v_add_u32_e32 v34, s29, v33
	v_ashrrev_i32_e32 v35, 31, v34
	v_add_u32_e32 v33, 0x100, v33
	v_lshlrev_b64 v[34:35], 2, v[34:35]
	v_cmp_le_i32_e32 vcc, s68, v33
	s_or_b64 s[86:87], vcc, s[86:87]
	v_add_co_u32_e32 v34, vcc, s18, v34
	v_addc_co_u32_e32 v35, vcc, v37, v35, vcc
	v_add_co_u32_e32 v19, vcc, s31, v19
	v_addc_co_u32_e32 v20, vcc, 0, v20, vcc
	s_waitcnt vmcnt(0)
	global_store_dword v[34:35], v36, off
	global_store_dword v[17:18], v36, off
	v_add_co_u32_e32 v17, vcc, s31, v17
	s_mov_b64 s[14:15], vcc
	v_add_co_u32_e32 v15, vcc, 0x400, v15
	s_mov_b64 s[16:17], vcc
	v_addc_co_u32_e64 v18, vcc, 0, v18, s[14:15]
	v_add_co_u32_e32 v13, vcc, 0x400, v13
	v_addc_co_u32_e64 v16, s[14:15], 0, v16, s[16:17]
	v_addc_co_u32_e32 v14, vcc, 0, v14, vcc
	s_andn2_b64 exec, exec, s[86:87]
	s_cbranch_execnz .LBB1_34
.LBB1_35:                               ;   in Loop: Header=BB1_21 Depth=2
	s_or_b64 exec, exec, s[84:85]
	s_and_saveexec_b64 s[14:15], s[0:1]
	s_cbranch_execz .LBB1_37
; %bb.36:                               ;   in Loop: Header=BB1_21 Depth=2
	global_load_dword v13, v2, s[72:73] offset:-4
	s_waitcnt vmcnt(0)
	global_store_dword v2, v13, s[74:75]
.LBB1_37:                               ;   in Loop: Header=BB1_21 Depth=2
	s_or_b64 exec, exec, s[14:15]
	s_waitcnt vmcnt(0)
	v_mul_f32_e32 v13, s52, v28
	s_cmp_lg_u32 s49, 0
	v_mul_f32_e64 v14, |v13|, s30
	v_sub_f32_e32 v15, v28, v1
	s_cselect_b64 s[84:85], -1, 0
	s_cmp_eq_u32 s49, 0
	v_fma_f32 v13, |v13|, s30, v1
	v_cmp_lt_f32_e32 vcc, v15, v14
	v_cndmask_b32_e32 v13, v28, v13, vcc
	s_cselect_b64 vcc, -1, 0
	v_cndmask_b32_e32 v28, v13, v28, vcc
	s_barrier
	s_and_saveexec_b64 s[14:15], s[0:1]
	s_cbranch_execz .LBB1_64
; %bb.38:                               ;   in Loop: Header=BB1_21 Depth=2
	global_load_dword v13, v2, s[38:39]
	s_mov_b64 s[16:17], 0
	s_mov_b32 s26, 1
	global_store_dword v2, v2, s[76:77]
	s_waitcnt vmcnt(1)
	v_sub_f32_e32 v13, v13, v28
	global_store_dword v2, v13, s[38:39]
	global_load_dword v14, v2, s[40:41] offset:4
	s_waitcnt vmcnt(0)
	v_add_f32_e64 v13, |v13|, |v14|
	s_branch .LBB1_40
.LBB1_39:                               ;   in Loop: Header=BB1_40 Depth=3
	s_add_u32 s16, s16, 4
	s_addc_u32 s17, s17, 0
	s_add_i32 s26, s26, 1
	s_cmp_eq_u32 s63, s26
	s_cbranch_scc1 .LBB1_61
.LBB1_40:                               ;   Parent Loop BB1_12 Depth=1
                                        ;     Parent Loop BB1_21 Depth=2
                                        ; =>    This Inner Loop Header: Depth=3
	s_add_i32 s51, s26, -1
	s_add_u32 s90, s38, s16
	s_addc_u32 s91, s39, s17
	global_load_dword v14, v2, s[90:91] offset:4
	s_add_u32 s88, s42, s16
	s_addc_u32 s89, s43, s17
	s_cmp_lt_u32 s51, s67
	s_cselect_b64 s[86:87], -1, 0
	s_cmp_ge_u32 s51, s67
	s_waitcnt vmcnt(0)
	v_sub_f32_e32 v16, v14, v28
	global_store_dword v2, v16, s[90:91] offset:4
	global_load_dword v17, v2, s[88:89]
	s_waitcnt vmcnt(0)
	v_add_f32_e64 v14, |v16|, |v17|
	s_cbranch_scc1 .LBB1_42
; %bb.41:                               ;   in Loop: Header=BB1_40 Depth=3
	s_add_u32 s92, s40, s16
	s_addc_u32 s93, s41, s17
	global_load_dword v15, v2, s[92:93] offset:8
	s_waitcnt vmcnt(0)
	v_add_f32_e64 v14, v14, |v15|
.LBB1_42:                               ;   in Loop: Header=BB1_40 Depth=3
	global_load_dword v18, v2, s[90:91]
	s_waitcnt vmcnt(0)
	v_cmp_eq_f32_e32 vcc, 0, v18
	s_cbranch_vccnz .LBB1_53
; %bb.43:                               ;   in Loop: Header=BB1_40 Depth=3
	v_and_b32_e32 v15, 0x7fffffff, v18
	v_div_scale_f32 v19, s[92:93], v13, v13, v15
	v_div_scale_f32 v15, vcc, v15, v13, v15
	v_rcp_f32_e32 v20, v19
	v_fma_f32 v33, -v19, v20, 1.0
	v_fmac_f32_e32 v20, v33, v20
	v_mul_f32_e32 v33, v15, v20
	v_fma_f32 v34, -v19, v33, v15
	v_fmac_f32_e32 v33, v34, v20
	v_fma_f32 v15, -v19, v33, v15
	v_div_fmas_f32 v15, v15, v20, v33
	v_div_fixup_f32 v15, v15, v13, |v18|
	v_cmp_neq_f32_e32 vcc, 0, v17
	s_cbranch_vccz .LBB1_54
.LBB1_44:                               ;   in Loop: Header=BB1_40 Depth=3
	v_and_b32_e32 v19, 0x7fffffff, v17
	v_div_scale_f32 v20, s[92:93], v14, v14, v19
	v_div_scale_f32 v19, vcc, v19, v14, v19
	s_add_u32 s92, s20, s16
	s_addc_u32 s93, s21, s17
	s_mov_b64 s[94:95], -1
	v_rcp_f32_e32 v33, v20
	v_fma_f32 v34, -v20, v33, 1.0
	v_fmac_f32_e32 v33, v34, v33
	v_mul_f32_e32 v34, v19, v33
	v_fma_f32 v35, -v20, v34, v19
	v_fmac_f32_e32 v34, v35, v33
	v_fma_f32 v19, -v20, v34, v19
	v_div_fmas_f32 v19, v19, v33, v34
	v_div_fixup_f32 v19, v19, v14, |v17|
	v_cmp_nle_f32_e32 vcc, v19, v15
	s_cbranch_vccnz .LBB1_48
; %bb.45:                               ;   in Loop: Header=BB1_40 Depth=3
	v_div_scale_f32 v20, s[94:95], v18, v18, v17
	v_div_scale_f32 v33, vcc, v17, v18, v17
	s_add_u32 s94, s40, s16
	s_addc_u32 s95, s41, s17
	v_rcp_f32_e32 v34, v20
	v_fma_f32 v35, -v20, v34, 1.0
	v_fmac_f32_e32 v34, v35, v34
	v_mul_f32_e32 v35, v33, v34
	v_fma_f32 v36, -v20, v35, v33
	v_fmac_f32_e32 v35, v36, v34
	v_fma_f32 v20, -v20, v35, v33
	v_div_fmas_f32 v20, v20, v34, v35
	s_andn2_b64 vcc, exec, s[86:87]
	v_div_fixup_f32 v20, v20, v18, v17
	global_store_dword v2, v20, s[88:89]
	global_load_dword v33, v2, s[90:91] offset:4
	global_load_dword v34, v2, s[94:95] offset:4
	s_waitcnt vmcnt(0)
	v_fma_f32 v20, -v20, v34, v33
	global_store_dword v2, v2, s[92:93]
	global_store_dword v2, v20, s[90:91] offset:4
	s_cbranch_vccnz .LBB1_47
; %bb.46:                               ;   in Loop: Header=BB1_40 Depth=3
	s_add_u32 s94, s46, s16
	s_addc_u32 s95, s47, s17
	global_store_dword v2, v2, s[94:95]
.LBB1_47:                               ;   in Loop: Header=BB1_40 Depth=3
	s_mov_b64 s[94:95], 0
.LBB1_48:                               ;   in Loop: Header=BB1_40 Depth=3
	s_andn2_b64 vcc, exec, s[94:95]
	v_mov_b32_e32 v20, v14
	s_cbranch_vccnz .LBB1_52
; %bb.49:                               ;   in Loop: Header=BB1_40 Depth=3
	s_add_u32 s94, s40, s16
	global_store_dword v2, v17, s[90:91]
	s_addc_u32 s95, s41, s17
	global_load_dword v20, v2, s[94:95] offset:4
	v_div_scale_f32 v33, vcc, v17, v17, v18
	v_div_scale_f32 v34, vcc, v18, v17, v18
	global_store_dword v2, v26, s[92:93]
	v_rcp_f32_e32 v35, v33
	v_fma_f32 v36, -v33, v35, 1.0
	v_fmac_f32_e32 v35, v36, v35
	v_mul_f32_e32 v36, v34, v35
	v_fma_f32 v37, -v33, v36, v34
	v_fmac_f32_e32 v36, v37, v35
	v_fma_f32 v33, -v33, v36, v34
	v_div_fmas_f32 v33, v33, v35, v36
	s_andn2_b64 vcc, exec, s[86:87]
	v_div_fixup_f32 v17, v33, v17, v18
	s_waitcnt vmcnt(1)
	v_fma_f32 v18, -v16, v17, v20
	global_store_dword v2, v18, s[90:91] offset:4
	s_cbranch_vccnz .LBB1_51
; %bb.50:                               ;   in Loop: Header=BB1_40 Depth=3
	global_load_dword v18, v2, s[94:95] offset:8
	s_add_u32 s90, s46, s16
	s_addc_u32 s91, s47, s17
	s_waitcnt vmcnt(0)
	global_store_dword v2, v18, s[90:91]
	v_mul_f32_e64 v18, v18, -v17
	global_store_dword v2, v18, s[94:95] offset:8
.LBB1_51:                               ;   in Loop: Header=BB1_40 Depth=3
	v_mov_b32_e32 v20, v13
	global_store_dword v2, v16, s[94:95] offset:4
	global_store_dword v2, v17, s[88:89]
.LBB1_52:                               ;   in Loop: Header=BB1_40 Depth=3
	v_mov_b32_e32 v13, v20
	s_cbranch_execz .LBB1_55
	s_branch .LBB1_58
.LBB1_53:                               ;   in Loop: Header=BB1_40 Depth=3
	v_mov_b32_e32 v15, 0
	v_cmp_neq_f32_e32 vcc, 0, v17
	s_cbranch_vccnz .LBB1_44
.LBB1_54:                               ;   in Loop: Header=BB1_40 Depth=3
                                        ; implicit-def: $vgpr19
                                        ; implicit-def: $vgpr13
.LBB1_55:                               ;   in Loop: Header=BB1_40 Depth=3
	s_add_u32 s88, s20, s16
	s_addc_u32 s89, s21, s17
	s_andn2_b64 vcc, exec, s[86:87]
	global_store_dword v2, v2, s[88:89]
	s_cbranch_vccnz .LBB1_57
; %bb.56:                               ;   in Loop: Header=BB1_40 Depth=3
	s_add_u32 s86, s46, s16
	s_addc_u32 s87, s47, s17
	global_store_dword v2, v2, s[86:87]
.LBB1_57:                               ;   in Loop: Header=BB1_40 Depth=3
	v_mov_b32_e32 v19, 0
	v_mov_b32_e32 v13, v14
.LBB1_58:                               ;   in Loop: Header=BB1_40 Depth=3
	v_max_f32_e32 v14, v19, v19
	v_max_f32_e32 v15, v15, v15
	;; [unrolled: 1-line block ×3, first 2 shown]
	v_cmp_nle_f32_e32 vcc, v14, v21
	s_cbranch_vccnz .LBB1_39
; %bb.59:                               ;   in Loop: Header=BB1_40 Depth=3
	global_load_dword v14, v2, s[76:77]
	s_waitcnt vmcnt(0)
	v_cmp_ne_u32_e32 vcc, 0, v14
	s_cbranch_vccnz .LBB1_39
; %bb.60:                               ;   in Loop: Header=BB1_40 Depth=3
	v_mov_b32_e32 v14, s26
	global_store_dword v2, v14, s[76:77]
	s_branch .LBB1_39
.LBB1_61:                               ;   in Loop: Header=BB1_21 Depth=2
	global_load_dword v14, v2, s[78:79]
	v_mul_f32_e32 v13, v21, v13
	s_waitcnt vmcnt(0)
	v_cmp_le_f32_e64 s[16:17], |v14|, v13
	s_and_b64 vcc, exec, s[16:17]
	s_cbranch_vccz .LBB1_64
; %bb.62:                               ;   in Loop: Header=BB1_21 Depth=2
	global_load_dword v13, v2, s[76:77]
	s_waitcnt vmcnt(0)
	v_cmp_ne_u32_e32 vcc, 0, v13
	s_cbranch_vccnz .LBB1_64
; %bb.63:                               ;   in Loop: Header=BB1_21 Depth=2
	v_mov_b32_e32 v13, s63
	global_store_dword v2, v13, s[76:77]
.LBB1_64:                               ;   in Loop: Header=BB1_21 Depth=2
	s_or_b64 exec, exec, s[14:15]
	v_sub_f32_e32 v1, v28, v1
	v_cmp_gt_f32_e64 s[86:87], |v1|, v31
	s_mov_b32 s51, 0
	s_mov_b32 s83, 0
	v_mov_b32_e32 v1, 0
	v_bfrev_b32_e32 v15, -2
	s_and_saveexec_b64 s[88:89], s[12:13]
	s_cbranch_execz .LBB1_68
.LBB1_65:                               ;   in Loop: Header=BB1_21 Depth=2
	v_mov_b32_e32 v14, v4
	v_mov_b32_e32 v1, 0
	v_bfrev_b32_e32 v15, -2
	s_mov_b64 s[90:91], 0
	v_mov_b32_e32 v13, v3
	v_mov_b32_e32 v16, v0
.LBB1_66:                               ;   Parent Loop BB1_12 Depth=1
                                        ;     Parent Loop BB1_21 Depth=2
                                        ; =>    This Inner Loop Header: Depth=3
	global_load_dword v17, v[13:14], off
	v_add_co_u32_e32 v13, vcc, 0x400, v13
	v_cmp_eq_u32_e64 s[14:15], s23, v15
	v_add_u32_e32 v18, 1, v16
	v_add_u32_e32 v16, 0x100, v16
	v_addc_co_u32_e32 v14, vcc, 0, v14, vcc
	v_cmp_le_u32_e64 s[16:17], s63, v16
	s_waitcnt vmcnt(0)
	v_cmp_lt_f32_e64 s[92:93], v1, |v17|
	s_or_b64 vcc, s[92:93], s[14:15]
	v_cndmask_b32_e64 v1, v1, |v17|, vcc
	s_or_b64 s[90:91], s[16:17], s[90:91]
	v_cndmask_b32_e32 v15, v15, v18, vcc
	s_andn2_b64 exec, exec, s[90:91]
	s_cbranch_execnz .LBB1_66
; %bb.67:                               ;   in Loop: Header=BB1_21 Depth=2
	s_or_b64 exec, exec, s[90:91]
.LBB1_68:                               ;   Parent Loop BB1_12 Depth=1
                                        ;     Parent Loop BB1_21 Depth=2
                                        ; =>    This Loop Header: Depth=3
                                        ;         Child Loop BB1_103 Depth 4
                                        ;         Child Loop BB1_106 Depth 4
	;; [unrolled: 1-line block ×4, first 2 shown]
                                        ;           Child Loop BB1_122 Depth 5
                                        ;         Child Loop BB1_136 Depth 4
                                        ;           Child Loop BB1_137 Depth 5
                                        ;           Child Loop BB1_139 Depth 5
                                        ;         Child Loop BB1_144 Depth 4
	s_or_b64 exec, exec, s[88:89]
	ds_write2st64_b32 v22, v1, v15 offset1:8
	s_waitcnt vmcnt(0) lgkmcnt(0)
	s_barrier
	s_and_saveexec_b64 s[16:17], s[2:3]
	s_cbranch_execz .LBB1_74
; %bb.69:                               ;   in Loop: Header=BB1_68 Depth=3
	ds_read2st64_b32 v[13:14], v22 offset0:2 offset1:10
	s_waitcnt lgkmcnt(0)
	v_cmp_lt_f32_e64 s[88:89], v1, v13
	v_cmp_nlt_f32_e32 vcc, v1, v13
	s_and_saveexec_b64 s[90:91], vcc
; %bb.70:                               ;   in Loop: Header=BB1_68 Depth=3
	v_cmp_eq_f32_e32 vcc, v1, v13
	v_cmp_gt_i32_e64 s[14:15], v15, v14
	s_and_b64 s[14:15], vcc, s[14:15]
	s_andn2_b64 s[88:89], s[88:89], exec
	s_and_b64 s[14:15], s[14:15], exec
	s_or_b64 s[88:89], s[88:89], s[14:15]
; %bb.71:                               ;   in Loop: Header=BB1_68 Depth=3
	s_or_b64 exec, exec, s[90:91]
	s_and_saveexec_b64 s[14:15], s[88:89]
; %bb.72:                               ;   in Loop: Header=BB1_68 Depth=3
	v_mov_b32_e32 v15, v14
	v_mov_b32_e32 v1, v13
	ds_write2st64_b32 v22, v13, v14 offset1:8
; %bb.73:                               ;   in Loop: Header=BB1_68 Depth=3
	s_or_b64 exec, exec, s[14:15]
.LBB1_74:                               ;   in Loop: Header=BB1_68 Depth=3
	s_or_b64 exec, exec, s[16:17]
	s_waitcnt lgkmcnt(0)
	s_barrier
	s_and_saveexec_b64 s[88:89], s[4:5]
	s_cbranch_execz .LBB1_101
; %bb.75:                               ;   in Loop: Header=BB1_68 Depth=3
	ds_read2st64_b32 v[13:14], v22 offset0:1 offset1:9
	s_waitcnt lgkmcnt(0)
	v_cmp_lt_f32_e64 s[16:17], v1, v13
	v_cmp_nlt_f32_e32 vcc, v1, v13
	s_and_saveexec_b64 s[90:91], vcc
; %bb.76:                               ;   in Loop: Header=BB1_68 Depth=3
	v_cmp_eq_f32_e32 vcc, v1, v13
	v_cmp_gt_i32_e64 s[14:15], v15, v14
	s_and_b64 s[14:15], vcc, s[14:15]
	s_andn2_b64 s[16:17], s[16:17], exec
	s_and_b64 s[14:15], s[14:15], exec
	s_or_b64 s[16:17], s[16:17], s[14:15]
; %bb.77:                               ;   in Loop: Header=BB1_68 Depth=3
	s_or_b64 exec, exec, s[90:91]
	s_and_saveexec_b64 s[14:15], s[16:17]
; %bb.78:                               ;   in Loop: Header=BB1_68 Depth=3
	v_mov_b32_e32 v1, v13
	v_mov_b32_e32 v15, v14
	ds_write2st64_b32 v22, v13, v14 offset1:8
; %bb.79:                               ;   in Loop: Header=BB1_68 Depth=3
	s_or_b64 exec, exec, s[14:15]
	v_add_u32_e32 v13, 0x80, v22
	ds_read2st64_b32 v[13:14], v13 offset1:8
	s_waitcnt lgkmcnt(0)
	v_cmp_lt_f32_e64 s[16:17], v1, v13
	v_cmp_nlt_f32_e32 vcc, v1, v13
	s_and_saveexec_b64 s[90:91], vcc
; %bb.80:                               ;   in Loop: Header=BB1_68 Depth=3
	v_cmp_eq_f32_e32 vcc, v1, v13
	v_cmp_gt_i32_e64 s[14:15], v15, v14
	s_and_b64 s[14:15], vcc, s[14:15]
	s_andn2_b64 s[16:17], s[16:17], exec
	s_and_b64 s[14:15], s[14:15], exec
	s_or_b64 s[16:17], s[16:17], s[14:15]
; %bb.81:                               ;   in Loop: Header=BB1_68 Depth=3
	s_or_b64 exec, exec, s[90:91]
	s_and_saveexec_b64 s[14:15], s[16:17]
; %bb.82:                               ;   in Loop: Header=BB1_68 Depth=3
	v_mov_b32_e32 v1, v13
	v_mov_b32_e32 v15, v14
	ds_write2st64_b32 v22, v13, v14 offset1:8
; %bb.83:                               ;   in Loop: Header=BB1_68 Depth=3
	s_or_b64 exec, exec, s[14:15]
	v_add_u32_e32 v13, 64, v22
	ds_read2st64_b32 v[13:14], v13 offset1:8
	;; [unrolled: 22-line block ×6, first 2 shown]
	s_waitcnt lgkmcnt(0)
	v_cmp_eq_f32_e64 s[14:15], v1, v13
	v_cmp_gt_i32_e64 s[16:17], v15, v14
	v_cmp_lt_f32_e32 vcc, v1, v13
	s_and_b64 s[14:15], s[14:15], s[16:17]
	s_or_b64 s[14:15], vcc, s[14:15]
	s_and_b64 exec, exec, s[14:15]
; %bb.100:                              ;   in Loop: Header=BB1_68 Depth=3
	ds_write2st64_b32 v22, v13, v14 offset1:8
.LBB1_101:                              ;   in Loop: Header=BB1_68 Depth=3
	s_or_b64 exec, exec, s[88:89]
	s_waitcnt lgkmcnt(0)
	s_barrier
	s_and_saveexec_b64 s[14:15], s[8:9]
	s_cbranch_execz .LBB1_104
; %bb.102:                              ;   in Loop: Header=BB1_68 Depth=3
	global_load_dword v1, v2, s[74:75]
	ds_read_b32 v15, v27
	v_mov_b32_e32 v13, s52
	s_waitcnt vmcnt(0)
	v_cmp_lt_f32_e64 s[16:17], s52, |v1|
	v_cndmask_b32_e64 v1, v13, |v1|, s[16:17]
	v_mul_f32_e32 v1, v32, v1
	s_waitcnt lgkmcnt(0)
	v_div_scale_f32 v13, s[16:17], v15, v15, v1
	v_div_scale_f32 v14, vcc, v1, v15, v1
	s_mov_b64 s[16:17], 0
	v_rcp_f32_e32 v16, v13
	v_fma_f32 v17, -v13, v16, 1.0
	v_fmac_f32_e32 v16, v17, v16
	v_mul_f32_e32 v17, v14, v16
	v_fma_f32 v18, -v13, v17, v14
	v_fmac_f32_e32 v17, v18, v16
	v_fma_f32 v13, -v13, v17, v14
	v_div_fmas_f32 v16, v13, v16, v17
	v_mov_b32_e32 v14, v4
	v_mov_b32_e32 v13, v3
	v_div_fixup_f32 v1, v16, v15, v1
	v_mov_b32_e32 v15, v0
.LBB1_103:                              ;   Parent Loop BB1_12 Depth=1
                                        ;     Parent Loop BB1_21 Depth=2
                                        ;       Parent Loop BB1_68 Depth=3
                                        ; =>      This Inner Loop Header: Depth=4
	global_load_dword v16, v[13:14], off
	v_add_u32_e32 v15, 0x100, v15
	v_cmp_lt_i32_e32 vcc, s68, v15
	s_or_b64 s[16:17], vcc, s[16:17]
	s_waitcnt vmcnt(0)
	v_mul_f32_e32 v16, v1, v16
	global_store_dword v[13:14], v16, off
	v_add_co_u32_e32 v13, vcc, 0x400, v13
	v_addc_co_u32_e32 v14, vcc, 0, v14, vcc
	s_andn2_b64 exec, exec, s[16:17]
	s_cbranch_execnz .LBB1_103
.LBB1_104:                              ;   in Loop: Header=BB1_68 Depth=3
	s_or_b64 exec, exec, s[14:15]
	s_waitcnt vmcnt(0)
	s_barrier
	s_and_saveexec_b64 s[16:17], s[0:1]
	s_cbranch_execz .LBB1_132
; %bb.105:                              ;   in Loop: Header=BB1_68 Depth=3
	global_load_dwordx2 v[13:14], v2, s[38:39]
	global_load_dword v1, v2, s[40:41] offset:4
	s_mov_b64 s[14:15], s[46:47]
	s_mov_b64 s[88:89], s[44:45]
	s_andn2_b64 vcc, exec, s[80:81]
	s_mov_b32 s26, s67
	s_waitcnt vmcnt(0)
	v_max3_f32 v1, |v13|, |v14|, |v1|
	s_cbranch_vccnz .LBB1_107
.LBB1_106:                              ;   Parent Loop BB1_12 Depth=1
                                        ;     Parent Loop BB1_21 Depth=2
                                        ;       Parent Loop BB1_68 Depth=3
                                        ; =>      This Inner Loop Header: Depth=4
	s_add_u32 s90, s88, s59
	s_addc_u32 s91, s89, s22
	global_load_dword v13, v2, s[14:15]
	global_load_dword v14, v2, s[88:89]
	;; [unrolled: 1-line block ×3, first 2 shown]
	s_add_i32 s26, s26, -1
	s_add_u32 s88, s88, 4
	s_addc_u32 s89, s89, 0
	s_add_u32 s14, s14, 4
	s_addc_u32 s15, s15, 0
	s_cmp_lg_u32 s26, 0
	s_waitcnt vmcnt(2)
	v_max_f32_e64 v13, |v13|, |v13|
	s_waitcnt vmcnt(0)
	v_max_f32_e64 v15, |v15|, |v15|
	v_max_f32_e32 v13, v15, v13
	v_max3_f32 v1, v1, |v14|, v13
	s_cbranch_scc1 .LBB1_106
.LBB1_107:                              ;   in Loop: Header=BB1_68 Depth=3
	s_mov_b32 s26, s68
	s_mov_b64 s[14:15], s[20:21]
	s_mov_b64 s[88:89], s[42:43]
	;; [unrolled: 1-line block ×3, first 2 shown]
	s_branch .LBB1_109
.LBB1_108:                              ;   in Loop: Header=BB1_109 Depth=4
	s_add_u32 s90, s90, 4
	s_addc_u32 s91, s91, 0
	s_add_u32 s88, s88, 4
	s_addc_u32 s89, s89, 0
	;; [unrolled: 2-line block ×3, first 2 shown]
	s_add_i32 s26, s26, -1
	s_cmp_lg_u32 s26, 0
	s_cbranch_scc0 .LBB1_113
.LBB1_109:                              ;   Parent Loop BB1_12 Depth=1
                                        ;     Parent Loop BB1_21 Depth=2
                                        ;       Parent Loop BB1_68 Depth=3
                                        ; =>      This Inner Loop Header: Depth=4
	global_load_dword v13, v2, s[14:15]
	s_waitcnt vmcnt(0)
	v_cmp_ne_u32_e32 vcc, 0, v13
	s_cbranch_vccz .LBB1_111
; %bb.110:                              ;   in Loop: Header=BB1_109 Depth=4
	global_load_dwordx2 v[13:14], v2, s[90:91] offset:-4
	s_waitcnt vmcnt(0)
	global_store_dword v2, v14, s[90:91] offset:-4
	global_load_dword v15, v2, s[88:89]
	s_waitcnt vmcnt(0)
	v_fma_f32 v13, -v14, v15, v13
	global_store_dword v2, v13, s[90:91]
	s_cbranch_execnz .LBB1_108
	s_branch .LBB1_112
.LBB1_111:                              ;   in Loop: Header=BB1_109 Depth=4
.LBB1_112:                              ;   in Loop: Header=BB1_109 Depth=4
	global_load_dwordx2 v[13:14], v2, s[90:91] offset:-4
	global_load_dword v15, v2, s[88:89]
	s_waitcnt vmcnt(0)
	v_fma_f32 v13, -v15, v13, v14
	global_store_dword v2, v13, s[90:91]
	s_branch .LBB1_108
.LBB1_113:                              ;   in Loop: Header=BB1_68 Depth=3
	v_mul_f32_e32 v1, s52, v1
	v_mov_b32_e32 v13, s52
	v_cmp_eq_f32_e32 vcc, 0, v1
	v_cndmask_b32_e32 v1, v1, v13, vcc
	v_and_b32_e32 v13, 0x7fffffff, v1
	s_mov_b32 s26, s68
	s_branch .LBB1_116
.LBB1_114:                              ;   in Loop: Header=BB1_116 Depth=4
	v_mov_b32_e32 v15, v19
.LBB1_115:                              ;   in Loop: Header=BB1_116 Depth=4
	v_div_scale_f32 v16, s[14:15], v15, v15, v14
	v_div_scale_f32 v17, vcc, v14, v15, v14
	s_add_i32 s14, s26, -1
	s_cmp_gt_i32 s26, 0
	s_mov_b32 s26, s14
	v_rcp_f32_e32 v18, v16
	v_fma_f32 v19, -v16, v18, 1.0
	v_fmac_f32_e32 v18, v19, v18
	v_mul_f32_e32 v19, v17, v18
	v_fma_f32 v20, -v16, v19, v17
	v_fmac_f32_e32 v19, v20, v18
	v_fma_f32 v16, -v16, v19, v17
	v_div_fmas_f32 v16, v16, v18, v19
	v_div_fixup_f32 v14, v16, v15, v14
	global_store_dword v2, v14, s[88:89]
	s_cbranch_scc0 .LBB1_132
.LBB1_116:                              ;   Parent Loop BB1_12 Depth=1
                                        ;     Parent Loop BB1_21 Depth=2
                                        ;       Parent Loop BB1_68 Depth=3
                                        ; =>      This Loop Header: Depth=4
                                        ;           Child Loop BB1_122 Depth 5
	s_lshl_b64 s[14:15], s[26:27], 2
	s_add_u32 s88, s18, s14
	s_addc_u32 s89, s19, s15
	global_load_dword v14, v2, s[88:89]
	s_cmp_ge_i32 s26, s68
	s_cbranch_scc1 .LBB1_118
; %bb.117:                              ;   in Loop: Header=BB1_116 Depth=4
	s_add_u32 s90, s40, s14
	s_addc_u32 s91, s41, s15
	global_load_dword v15, v2, s[90:91] offset:4
	global_load_dword v16, v2, s[88:89] offset:4
	s_waitcnt vmcnt(0)
	v_fma_f32 v14, -v15, v16, v14
.LBB1_118:                              ;   in Loop: Header=BB1_116 Depth=4
	s_cmp_ge_i32 s26, s67
	s_cbranch_scc1 .LBB1_120
; %bb.119:                              ;   in Loop: Header=BB1_116 Depth=4
	s_add_u32 s90, s46, s14
	s_addc_u32 s91, s47, s15
	global_load_dword v15, v2, s[90:91]
	global_load_dword v16, v2, s[88:89] offset:8
	s_waitcnt vmcnt(0)
	v_fma_f32 v14, -v15, v16, v14
.LBB1_120:                              ;   in Loop: Header=BB1_116 Depth=4
	s_add_u32 s14, s38, s14
	s_addc_u32 s15, s39, s15
	global_load_dword v15, v2, s[14:15]
	s_waitcnt vmcnt(0)
	v_cmp_nlt_f32_e64 s[14:15], |v15|, 1.0
	s_and_b64 vcc, exec, s[14:15]
	s_cbranch_vccnz .LBB1_115
; %bb.121:                              ;   in Loop: Header=BB1_116 Depth=4
	v_cmp_nle_f32_e32 vcc, 0, v15
	v_and_b32_e32 v18, 0x7fffffff, v15
	v_cndmask_b32_e64 v17, |v1|, -v13, vcc
	v_mul_f32_e64 v16, s53, |v14|
.LBB1_122:                              ;   Parent Loop BB1_12 Depth=1
                                        ;     Parent Loop BB1_21 Depth=2
                                        ;       Parent Loop BB1_68 Depth=3
                                        ;         Parent Loop BB1_116 Depth=4
                                        ; =>        This Inner Loop Header: Depth=5
	v_cmp_ngt_f32_e32 vcc, s53, v18
	s_mov_b64 s[14:15], -1
	s_mov_b64 s[90:91], 0
	s_mov_b64 s[92:93], -1
	s_cbranch_vccnz .LBB1_126
; %bb.123:                              ;   in Loop: Header=BB1_122 Depth=5
	s_andn2_b64 vcc, exec, s[92:93]
	s_cbranch_vccz .LBB1_127
.LBB1_124:                              ;   in Loop: Header=BB1_122 Depth=5
	s_andn2_b64 vcc, exec, s[90:91]
	s_cbranch_vccnz .LBB1_128
.LBB1_125:                              ;   in Loop: Header=BB1_122 Depth=5
	v_add_f32_e32 v19, v15, v17
	v_add_f32_e32 v17, v17, v17
	v_and_b32_e32 v18, 0x7fffffff, v19
	v_cmp_nlt_f32_e64 s[90:91], |v19|, 1.0
	s_mov_b64 s[14:15], -1
	s_andn2_b64 vcc, exec, s[90:91]
	s_cbranch_vccnz .LBB1_129
	s_branch .LBB1_130
.LBB1_126:                              ;   in Loop: Header=BB1_122 Depth=5
	v_mul_f32_e32 v19, v23, v18
	v_cmp_gt_f32_e64 s[90:91], |v14|, v19
	s_cbranch_execnz .LBB1_124
.LBB1_127:                              ;   in Loop: Header=BB1_122 Depth=5
	v_cmp_eq_f32_e32 vcc, 0, v15
	v_cmp_gt_f32_e64 s[14:15], v16, v18
	s_or_b64 s[90:91], vcc, s[14:15]
	s_mov_b64 s[14:15], 0
	s_andn2_b64 vcc, exec, s[90:91]
	s_cbranch_vccz .LBB1_125
.LBB1_128:                              ;   in Loop: Header=BB1_116 Depth=4
                                        ; implicit-def: $vgpr17
                                        ; implicit-def: $vgpr18
	v_mov_b32_e32 v19, v15
	s_branch .LBB1_130
.LBB1_129:                              ;   in Loop: Header=BB1_122 Depth=5
	v_mov_b32_e32 v15, v19
	s_branch .LBB1_122
.LBB1_130:                              ;   in Loop: Header=BB1_116 Depth=4
	s_andn2_b64 vcc, exec, s[14:15]
	s_cbranch_vccz .LBB1_114
; %bb.131:                              ;   in Loop: Header=BB1_116 Depth=4
	v_mul_f32_e32 v14, v23, v14
	v_mul_f32_e32 v19, v23, v15
	s_branch .LBB1_114
.LBB1_132:                              ;   in Loop: Header=BB1_68 Depth=3
	s_or_b64 exec, exec, s[16:17]
	s_andn2_b64 vcc, exec, s[84:85]
	s_waitcnt vmcnt(0)
	s_barrier
	s_cbranch_vccnz .LBB1_142
; %bb.133:                              ;   in Loop: Header=BB1_68 Depth=3
	s_and_b64 s[14:15], s[86:87], exec
	s_cselect_b32 s26, s82, s65
	s_cmp_eq_u32 s26, s82
	s_mov_b32 s65, s82
	s_cbranch_scc1 .LBB1_142
; %bb.134:                              ;   in Loop: Header=BB1_68 Depth=3
	s_cmp_lt_i32 s26, s82
	s_cselect_b64 s[14:15], -1, 0
	s_and_b64 s[16:17], s[0:1], s[14:15]
	s_and_saveexec_b64 s[14:15], s[16:17]
	s_cbranch_execz .LBB1_141
; %bb.135:                              ;   in Loop: Header=BB1_68 Depth=3
	s_mul_i32 s16, s37, s26
	s_add_i32 s65, s64, s16
	s_mov_b32 s90, s26
.LBB1_136:                              ;   Parent Loop BB1_12 Depth=1
                                        ;     Parent Loop BB1_21 Depth=2
                                        ;       Parent Loop BB1_68 Depth=3
                                        ; =>      This Loop Header: Depth=4
                                        ;           Child Loop BB1_137 Depth 5
                                        ;           Child Loop BB1_139 Depth 5
	v_mov_b32_e32 v1, 0
	s_mov_b64 s[16:17], s[18:19]
	s_mov_b32 s88, s65
	s_mov_b32 s91, s63
.LBB1_137:                              ;   Parent Loop BB1_12 Depth=1
                                        ;     Parent Loop BB1_21 Depth=2
                                        ;       Parent Loop BB1_68 Depth=3
                                        ;         Parent Loop BB1_136 Depth=4
                                        ; =>        This Inner Loop Header: Depth=5
	s_ashr_i32 s89, s88, 31
	s_lshl_b64 s[92:93], s[88:89], 2
	s_add_u32 s92, s36, s92
	s_addc_u32 s93, s58, s93
	global_load_dword v13, v2, s[16:17]
	global_load_dword v14, v2, s[92:93]
	s_add_i32 s91, s91, -1
	s_add_i32 s88, s88, 1
	s_add_u32 s16, s16, 4
	s_addc_u32 s17, s17, 0
	s_cmp_lg_u32 s91, 0
	s_waitcnt vmcnt(0)
	v_fmac_f32_e32 v1, v13, v14
	s_cbranch_scc1 .LBB1_137
; %bb.138:                              ;   in Loop: Header=BB1_136 Depth=4
	s_mov_b32 s88, 0
	s_mov_b64 s[16:17], s[18:19]
.LBB1_139:                              ;   Parent Loop BB1_12 Depth=1
                                        ;     Parent Loop BB1_21 Depth=2
                                        ;       Parent Loop BB1_68 Depth=3
                                        ;         Parent Loop BB1_136 Depth=4
                                        ; =>        This Inner Loop Header: Depth=5
	s_add_i32 s92, s65, s88
	s_ashr_i32 s93, s92, 31
	s_lshl_b64 s[92:93], s[92:93], 2
	s_add_u32 s92, s36, s92
	s_addc_u32 s93, s58, s93
	global_load_dword v13, v2, s[16:17]
	global_load_dword v14, v2, s[92:93]
	s_add_i32 s88, s88, 1
	s_waitcnt vmcnt(0)
	v_fma_f32 v13, -v1, v14, v13
	global_store_dword v2, v13, s[16:17]
	s_add_u32 s16, s16, 4
	s_addc_u32 s17, s17, 0
	s_cmp_lg_u32 s63, s88
	s_cbranch_scc1 .LBB1_139
; %bb.140:                              ;   in Loop: Header=BB1_136 Depth=4
	s_add_i32 s90, s90, 1
	s_add_i32 s65, s65, s37
	s_cmp_lt_i32 s90, s82
	s_cbranch_scc1 .LBB1_136
.LBB1_141:                              ;   in Loop: Header=BB1_68 Depth=3
	s_or_b64 exec, exec, s[14:15]
	s_mov_b32 s65, s26
	s_waitcnt vmcnt(0)
	s_barrier
.LBB1_142:                              ;   in Loop: Header=BB1_68 Depth=3
	v_mov_b32_e32 v1, 0
	v_bfrev_b32_e32 v15, -2
	s_and_saveexec_b64 s[88:89], s[12:13]
	s_cbranch_execz .LBB1_146
; %bb.143:                              ;   in Loop: Header=BB1_68 Depth=3
	v_mov_b32_e32 v14, v4
	v_mov_b32_e32 v1, 0
	v_bfrev_b32_e32 v15, -2
	s_mov_b64 s[90:91], 0
	v_mov_b32_e32 v13, v3
	v_mov_b32_e32 v16, v0
.LBB1_144:                              ;   Parent Loop BB1_12 Depth=1
                                        ;     Parent Loop BB1_21 Depth=2
                                        ;       Parent Loop BB1_68 Depth=3
                                        ; =>      This Inner Loop Header: Depth=4
	global_load_dword v17, v[13:14], off
	v_add_co_u32_e32 v13, vcc, 0x400, v13
	v_cmp_eq_u32_e64 s[14:15], s23, v15
	v_add_u32_e32 v18, 1, v16
	v_add_u32_e32 v16, 0x100, v16
	v_addc_co_u32_e32 v14, vcc, 0, v14, vcc
	v_cmp_le_u32_e64 s[16:17], s63, v16
	s_waitcnt vmcnt(0)
	v_cmp_lt_f32_e64 s[92:93], v1, |v17|
	s_or_b64 vcc, s[92:93], s[14:15]
	v_cndmask_b32_e64 v1, v1, |v17|, vcc
	s_or_b64 s[90:91], s[16:17], s[90:91]
	v_cndmask_b32_e32 v15, v15, v18, vcc
	s_andn2_b64 exec, exec, s[90:91]
	s_cbranch_execnz .LBB1_144
; %bb.145:                              ;   in Loop: Header=BB1_68 Depth=3
	s_or_b64 exec, exec, s[90:91]
.LBB1_146:                              ;   in Loop: Header=BB1_68 Depth=3
	s_or_b64 exec, exec, s[88:89]
	ds_write2st64_b32 v22, v1, v15 offset1:8
	s_waitcnt lgkmcnt(0)
	s_barrier
	s_and_saveexec_b64 s[16:17], s[2:3]
	s_cbranch_execz .LBB1_152
; %bb.147:                              ;   in Loop: Header=BB1_68 Depth=3
	ds_read2st64_b32 v[13:14], v22 offset0:2 offset1:10
	s_waitcnt lgkmcnt(0)
	v_cmp_lt_f32_e64 s[88:89], v1, v13
	v_cmp_nlt_f32_e32 vcc, v1, v13
	s_and_saveexec_b64 s[90:91], vcc
; %bb.148:                              ;   in Loop: Header=BB1_68 Depth=3
	v_cmp_eq_f32_e32 vcc, v1, v13
	v_cmp_gt_i32_e64 s[14:15], v15, v14
	s_and_b64 s[14:15], vcc, s[14:15]
	s_andn2_b64 s[88:89], s[88:89], exec
	s_and_b64 s[14:15], s[14:15], exec
	s_or_b64 s[88:89], s[88:89], s[14:15]
; %bb.149:                              ;   in Loop: Header=BB1_68 Depth=3
	s_or_b64 exec, exec, s[90:91]
	s_and_saveexec_b64 s[14:15], s[88:89]
; %bb.150:                              ;   in Loop: Header=BB1_68 Depth=3
	v_mov_b32_e32 v15, v14
	v_mov_b32_e32 v1, v13
	ds_write2st64_b32 v22, v13, v14 offset1:8
; %bb.151:                              ;   in Loop: Header=BB1_68 Depth=3
	s_or_b64 exec, exec, s[14:15]
.LBB1_152:                              ;   in Loop: Header=BB1_68 Depth=3
	s_or_b64 exec, exec, s[16:17]
	s_waitcnt lgkmcnt(0)
	s_barrier
	s_and_saveexec_b64 s[88:89], s[4:5]
	s_cbranch_execz .LBB1_179
; %bb.153:                              ;   in Loop: Header=BB1_68 Depth=3
	ds_read2st64_b32 v[13:14], v22 offset0:1 offset1:9
	s_waitcnt lgkmcnt(0)
	v_cmp_lt_f32_e64 s[16:17], v1, v13
	v_cmp_nlt_f32_e32 vcc, v1, v13
	s_and_saveexec_b64 s[90:91], vcc
; %bb.154:                              ;   in Loop: Header=BB1_68 Depth=3
	v_cmp_eq_f32_e32 vcc, v1, v13
	v_cmp_gt_i32_e64 s[14:15], v15, v14
	s_and_b64 s[14:15], vcc, s[14:15]
	s_andn2_b64 s[16:17], s[16:17], exec
	s_and_b64 s[14:15], s[14:15], exec
	s_or_b64 s[16:17], s[16:17], s[14:15]
; %bb.155:                              ;   in Loop: Header=BB1_68 Depth=3
	s_or_b64 exec, exec, s[90:91]
	s_and_saveexec_b64 s[14:15], s[16:17]
; %bb.156:                              ;   in Loop: Header=BB1_68 Depth=3
	v_mov_b32_e32 v1, v13
	v_mov_b32_e32 v15, v14
	ds_write2st64_b32 v22, v13, v14 offset1:8
; %bb.157:                              ;   in Loop: Header=BB1_68 Depth=3
	s_or_b64 exec, exec, s[14:15]
	v_add_u32_e32 v13, 0x80, v22
	ds_read2st64_b32 v[13:14], v13 offset1:8
	s_waitcnt lgkmcnt(0)
	v_cmp_lt_f32_e64 s[16:17], v1, v13
	v_cmp_nlt_f32_e32 vcc, v1, v13
	s_and_saveexec_b64 s[90:91], vcc
; %bb.158:                              ;   in Loop: Header=BB1_68 Depth=3
	v_cmp_eq_f32_e32 vcc, v1, v13
	v_cmp_gt_i32_e64 s[14:15], v15, v14
	s_and_b64 s[14:15], vcc, s[14:15]
	s_andn2_b64 s[16:17], s[16:17], exec
	s_and_b64 s[14:15], s[14:15], exec
	s_or_b64 s[16:17], s[16:17], s[14:15]
; %bb.159:                              ;   in Loop: Header=BB1_68 Depth=3
	s_or_b64 exec, exec, s[90:91]
	s_and_saveexec_b64 s[14:15], s[16:17]
; %bb.160:                              ;   in Loop: Header=BB1_68 Depth=3
	v_mov_b32_e32 v1, v13
	v_mov_b32_e32 v15, v14
	ds_write2st64_b32 v22, v13, v14 offset1:8
; %bb.161:                              ;   in Loop: Header=BB1_68 Depth=3
	s_or_b64 exec, exec, s[14:15]
	v_add_u32_e32 v13, 64, v22
	ds_read2st64_b32 v[13:14], v13 offset1:8
	;; [unrolled: 22-line block ×6, first 2 shown]
	s_waitcnt lgkmcnt(0)
	v_cmp_eq_f32_e64 s[14:15], v1, v13
	v_cmp_gt_i32_e64 s[16:17], v15, v14
	v_cmp_lt_f32_e32 vcc, v1, v13
	s_and_b64 s[14:15], s[14:15], s[16:17]
	s_or_b64 s[14:15], vcc, s[14:15]
	s_and_b64 exec, exec, s[14:15]
; %bb.178:                              ;   in Loop: Header=BB1_68 Depth=3
	ds_write2st64_b32 v22, v13, v14 offset1:8
.LBB1_179:                              ;   in Loop: Header=BB1_68 Depth=3
	s_or_b64 exec, exec, s[88:89]
	s_waitcnt lgkmcnt(0)
	s_barrier
	ds_read_b32 v1, v27
	s_add_i32 s16, s83, 1
	s_waitcnt lgkmcnt(0)
	v_cmp_ge_f32_e32 vcc, v1, v30
	v_cndmask_b32_e64 v1, 0, 1, vcc
	v_readfirstlane_b32 s14, v1
	s_add_i32 s51, s51, s14
	s_cmp_lt_u32 s83, 4
	s_cselect_b64 s[88:89], -1, 0
	s_cmp_lt_u32 s51, 2
	s_cselect_b64 s[14:15], -1, 0
	s_and_b64 s[88:89], s[88:89], s[14:15]
	s_and_b64 vcc, exec, s[88:89]
	s_cbranch_vccz .LBB1_181
; %bb.180:                              ;   in Loop: Header=BB1_68 Depth=3
	s_mov_b32 s83, s16
	v_mov_b32_e32 v1, 0
	v_bfrev_b32_e32 v15, -2
	s_and_saveexec_b64 s[88:89], s[12:13]
	s_cbranch_execnz .LBB1_65
	s_branch .LBB1_68
.LBB1_181:                              ;   in Loop: Header=BB1_21 Depth=2
	s_and_b64 s[16:17], s[54:55], s[14:15]
	s_and_saveexec_b64 s[14:15], s[16:17]
	s_cbranch_execz .LBB1_183
; %bb.182:                              ;   in Loop: Header=BB1_21 Depth=2
	ds_read_b32 v13, v2
	v_readlane_b32 s84, v41, 2
	v_readlane_b32 s85, v41, 3
	s_add_i32 s16, s82, 1
	v_mov_b32_e32 v1, s85
	s_waitcnt lgkmcnt(0)
	v_ashrrev_i32_e32 v14, 31, v13
	v_lshlrev_b64 v[14:15], 2, v[13:14]
	v_mov_b32_e32 v16, s16
	v_add_co_u32_e32 v14, vcc, s84, v14
	v_addc_co_u32_e32 v15, vcc, v1, v15, vcc
	v_add_u32_e32 v1, 1, v13
	global_store_dword v[14:15], v16, off
	ds_write_b32 v2, v1
.LBB1_183:                              ;   in Loop: Header=BB1_21 Depth=2
	s_or_b64 exec, exec, s[14:15]
	v_mov_b32_e32 v1, 0
	v_bfrev_b32_e32 v15, -2
	s_and_saveexec_b64 s[84:85], s[12:13]
	s_cbranch_execz .LBB1_187
; %bb.184:                              ;   in Loop: Header=BB1_21 Depth=2
	v_mov_b32_e32 v14, v4
	v_mov_b32_e32 v1, 0
	v_bfrev_b32_e32 v15, -2
	s_mov_b64 s[86:87], 0
	v_mov_b32_e32 v13, v3
	v_mov_b32_e32 v16, v0
.LBB1_185:                              ;   Parent Loop BB1_12 Depth=1
                                        ;     Parent Loop BB1_21 Depth=2
                                        ; =>    This Inner Loop Header: Depth=3
	global_load_dword v17, v[13:14], off
	v_add_co_u32_e32 v13, vcc, 0x400, v13
	v_cmp_eq_u32_e64 s[14:15], s23, v15
	v_add_u32_e32 v18, 1, v16
	v_add_u32_e32 v16, 0x100, v16
	v_addc_co_u32_e32 v14, vcc, 0, v14, vcc
	v_cmp_le_u32_e64 s[16:17], s63, v16
	s_waitcnt vmcnt(0)
	v_cmp_lt_f32_e64 s[88:89], v1, |v17|
	s_or_b64 vcc, s[88:89], s[14:15]
	v_cndmask_b32_e64 v1, v1, |v17|, vcc
	s_or_b64 s[86:87], s[16:17], s[86:87]
	v_cndmask_b32_e32 v15, v15, v18, vcc
	s_andn2_b64 exec, exec, s[86:87]
	s_cbranch_execnz .LBB1_185
; %bb.186:                              ;   in Loop: Header=BB1_21 Depth=2
	s_or_b64 exec, exec, s[86:87]
.LBB1_187:                              ;   in Loop: Header=BB1_21 Depth=2
	s_or_b64 exec, exec, s[84:85]
	ds_write2st64_b32 v22, v1, v15 offset1:8
	s_waitcnt vmcnt(0) lgkmcnt(0)
	s_barrier
	s_and_saveexec_b64 s[16:17], s[2:3]
	s_cbranch_execz .LBB1_193
; %bb.188:                              ;   in Loop: Header=BB1_21 Depth=2
	ds_read2st64_b32 v[13:14], v22 offset0:2 offset1:10
	s_waitcnt lgkmcnt(0)
	v_cmp_lt_f32_e64 s[84:85], v1, v13
	v_cmp_nlt_f32_e32 vcc, v1, v13
	s_and_saveexec_b64 s[86:87], vcc
; %bb.189:                              ;   in Loop: Header=BB1_21 Depth=2
	v_cmp_eq_f32_e32 vcc, v1, v13
	v_cmp_gt_i32_e64 s[14:15], v15, v14
	s_and_b64 s[14:15], vcc, s[14:15]
	s_andn2_b64 s[84:85], s[84:85], exec
	s_and_b64 s[14:15], s[14:15], exec
	s_or_b64 s[84:85], s[84:85], s[14:15]
; %bb.190:                              ;   in Loop: Header=BB1_21 Depth=2
	s_or_b64 exec, exec, s[86:87]
	s_and_saveexec_b64 s[14:15], s[84:85]
; %bb.191:                              ;   in Loop: Header=BB1_21 Depth=2
	v_mov_b32_e32 v15, v14
	v_mov_b32_e32 v1, v13
	ds_write2st64_b32 v22, v13, v14 offset1:8
; %bb.192:                              ;   in Loop: Header=BB1_21 Depth=2
	s_or_b64 exec, exec, s[14:15]
.LBB1_193:                              ;   in Loop: Header=BB1_21 Depth=2
	s_or_b64 exec, exec, s[16:17]
	s_waitcnt lgkmcnt(0)
	s_barrier
	s_and_saveexec_b64 s[84:85], s[4:5]
	s_cbranch_execz .LBB1_220
; %bb.194:                              ;   in Loop: Header=BB1_21 Depth=2
	ds_read2st64_b32 v[13:14], v22 offset0:1 offset1:9
	s_waitcnt lgkmcnt(0)
	v_cmp_lt_f32_e64 s[16:17], v1, v13
	v_cmp_nlt_f32_e32 vcc, v1, v13
	s_and_saveexec_b64 s[86:87], vcc
; %bb.195:                              ;   in Loop: Header=BB1_21 Depth=2
	v_cmp_eq_f32_e32 vcc, v1, v13
	v_cmp_gt_i32_e64 s[14:15], v15, v14
	s_and_b64 s[14:15], vcc, s[14:15]
	s_andn2_b64 s[16:17], s[16:17], exec
	s_and_b64 s[14:15], s[14:15], exec
	s_or_b64 s[16:17], s[16:17], s[14:15]
; %bb.196:                              ;   in Loop: Header=BB1_21 Depth=2
	s_or_b64 exec, exec, s[86:87]
	s_and_saveexec_b64 s[14:15], s[16:17]
; %bb.197:                              ;   in Loop: Header=BB1_21 Depth=2
	v_mov_b32_e32 v1, v13
	v_mov_b32_e32 v15, v14
	ds_write2st64_b32 v22, v13, v14 offset1:8
; %bb.198:                              ;   in Loop: Header=BB1_21 Depth=2
	s_or_b64 exec, exec, s[14:15]
	v_add_u32_e32 v13, 0x80, v22
	ds_read2st64_b32 v[13:14], v13 offset1:8
	s_waitcnt lgkmcnt(0)
	v_cmp_lt_f32_e64 s[16:17], v1, v13
	v_cmp_nlt_f32_e32 vcc, v1, v13
	s_and_saveexec_b64 s[86:87], vcc
; %bb.199:                              ;   in Loop: Header=BB1_21 Depth=2
	v_cmp_eq_f32_e32 vcc, v1, v13
	v_cmp_gt_i32_e64 s[14:15], v15, v14
	s_and_b64 s[14:15], vcc, s[14:15]
	s_andn2_b64 s[16:17], s[16:17], exec
	s_and_b64 s[14:15], s[14:15], exec
	s_or_b64 s[16:17], s[16:17], s[14:15]
; %bb.200:                              ;   in Loop: Header=BB1_21 Depth=2
	s_or_b64 exec, exec, s[86:87]
	s_and_saveexec_b64 s[14:15], s[16:17]
; %bb.201:                              ;   in Loop: Header=BB1_21 Depth=2
	v_mov_b32_e32 v1, v13
	v_mov_b32_e32 v15, v14
	ds_write2st64_b32 v22, v13, v14 offset1:8
; %bb.202:                              ;   in Loop: Header=BB1_21 Depth=2
	s_or_b64 exec, exec, s[14:15]
	v_add_u32_e32 v13, 64, v22
	ds_read2st64_b32 v[13:14], v13 offset1:8
	;; [unrolled: 22-line block ×6, first 2 shown]
	s_waitcnt lgkmcnt(0)
	v_cmp_eq_f32_e64 s[14:15], v1, v13
	v_cmp_gt_i32_e64 s[16:17], v15, v14
	v_cmp_lt_f32_e32 vcc, v1, v13
	s_and_b64 s[14:15], s[14:15], s[16:17]
	s_or_b64 s[14:15], vcc, s[14:15]
	s_and_b64 exec, exec, s[14:15]
; %bb.219:                              ;   in Loop: Header=BB1_21 Depth=2
	ds_write2st64_b32 v22, v13, v14 offset1:8
.LBB1_220:                              ;   in Loop: Header=BB1_21 Depth=2
	s_or_b64 exec, exec, s[84:85]
	v_mov_b32_e32 v1, 0
	s_and_saveexec_b64 s[16:17], s[12:13]
	s_cbranch_execz .LBB1_224
; %bb.221:                              ;   in Loop: Header=BB1_21 Depth=2
	v_mov_b32_e32 v14, v4
	v_mov_b32_e32 v1, 0
	s_mov_b64 s[84:85], 0
	v_mov_b32_e32 v13, v3
	v_mov_b32_e32 v15, v0
.LBB1_222:                              ;   Parent Loop BB1_12 Depth=1
                                        ;     Parent Loop BB1_21 Depth=2
                                        ; =>    This Inner Loop Header: Depth=3
	global_load_dword v16, v[13:14], off
	v_add_u32_e32 v15, 0x100, v15
	v_add_co_u32_e32 v13, vcc, 0x400, v13
	v_cmp_le_u32_e64 s[14:15], s63, v15
	v_addc_co_u32_e32 v14, vcc, 0, v14, vcc
	s_or_b64 s[84:85], s[14:15], s[84:85]
	s_waitcnt vmcnt(0)
	v_fmac_f32_e32 v1, v16, v16
	s_andn2_b64 exec, exec, s[84:85]
	s_cbranch_execnz .LBB1_222
; %bb.223:                              ;   in Loop: Header=BB1_21 Depth=2
	s_or_b64 exec, exec, s[84:85]
.LBB1_224:                              ;   in Loop: Header=BB1_21 Depth=2
	s_or_b64 exec, exec, s[16:17]
	ds_write_b32 v22, v1 offset:1024
	s_waitcnt lgkmcnt(0)
	s_barrier
	s_and_saveexec_b64 s[14:15], s[2:3]
	s_cbranch_execz .LBB1_226
; %bb.225:                              ;   in Loop: Header=BB1_21 Depth=2
	ds_read_b32 v13, v22 offset:1536
	s_waitcnt lgkmcnt(0)
	v_add_f32_e32 v1, v1, v13
.LBB1_226:                              ;   in Loop: Header=BB1_21 Depth=2
	s_or_b64 exec, exec, s[14:15]
	s_barrier
	s_and_saveexec_b64 s[14:15], s[2:3]
; %bb.227:                              ;   in Loop: Header=BB1_21 Depth=2
	ds_write_b32 v22, v1 offset:1024
; %bb.228:                              ;   in Loop: Header=BB1_21 Depth=2
	s_or_b64 exec, exec, s[14:15]
	s_waitcnt lgkmcnt(0)
	s_barrier
	s_and_saveexec_b64 s[14:15], s[4:5]
	s_cbranch_execz .LBB1_230
; %bb.229:                              ;   in Loop: Header=BB1_21 Depth=2
	ds_read2st64_b32 v[13:14], v22 offset0:4 offset1:5
	v_add_u32_e32 v1, 0x400, v22
	s_waitcnt lgkmcnt(0)
	v_add_f32_e32 v13, v13, v14
	ds_write_b32 v22, v13 offset:1024
	s_waitcnt lgkmcnt(0)
	buffer_wbinvl1_vol
	ds_read2_b32 v[13:14], v1 offset1:32
	s_waitcnt lgkmcnt(0)
	v_add_f32_e32 v13, v13, v14
	ds_write_b32 v22, v13 offset:1024
	s_waitcnt lgkmcnt(0)
	buffer_wbinvl1_vol
	ds_read2_b32 v[13:14], v1 offset1:16
	;; [unrolled: 6-line block ×6, first 2 shown]
	s_waitcnt lgkmcnt(0)
	v_add_f32_e32 v1, v13, v14
	ds_write_b32 v22, v1 offset:1024
	s_waitcnt lgkmcnt(0)
	buffer_wbinvl1_vol
.LBB1_230:                              ;   in Loop: Header=BB1_21 Depth=2
	s_or_b64 exec, exec, s[14:15]
	s_and_saveexec_b64 s[16:17], s[0:1]
	s_cbranch_execz .LBB1_232
; %bb.231:                              ;   in Loop: Header=BB1_21 Depth=2
	ds_read_b32 v1, v27 offset:1024
	s_mov_b32 s14, 0xf800000
	s_waitcnt lgkmcnt(0)
	v_mul_f32_e32 v13, 0x4f800000, v1
	v_cmp_gt_f32_e32 vcc, s14, v1
	v_cndmask_b32_e32 v1, v1, v13, vcc
	v_sqrt_f32_e32 v13, v1
	v_add_u32_e32 v14, -1, v13
	v_add_u32_e32 v15, 1, v13
	v_fma_f32 v16, -v14, v13, v1
	v_fma_f32 v17, -v15, v13, v1
	v_cmp_ge_f32_e64 s[14:15], 0, v16
	v_cndmask_b32_e64 v13, v13, v14, s[14:15]
	v_cmp_lt_f32_e64 s[14:15], 0, v17
	v_cndmask_b32_e64 v13, v13, v15, s[14:15]
	v_mul_f32_e32 v14, 0x37800000, v13
	v_cndmask_b32_e32 v13, v13, v14, vcc
	v_cmp_class_f32_e32 vcc, v1, v24
	v_cndmask_b32_e32 v1, v13, v1, vcc
	ds_write_b32 v27, v1 offset:1024
.LBB1_232:                              ;   in Loop: Header=BB1_21 Depth=2
	s_or_b64 exec, exec, s[16:17]
	s_waitcnt lgkmcnt(0)
	s_barrier
	ds_read2st64_b32 v[13:14], v27 offset0:4 offset1:8
	v_mov_b32_e32 v1, s19
	s_waitcnt lgkmcnt(0)
	v_ashrrev_i32_e32 v15, 31, v14
	v_lshlrev_b64 v[14:15], 2, v[14:15]
	v_add_co_u32_e32 v14, vcc, s18, v14
	v_addc_co_u32_e32 v15, vcc, v1, v15, vcc
	global_load_dword v1, v[14:15], off offset:-4
	s_waitcnt vmcnt(0)
	s_barrier
	s_and_saveexec_b64 s[14:15], s[8:9]
	s_cbranch_execz .LBB1_235
; %bb.233:                              ;   in Loop: Header=BB1_21 Depth=2
	v_cmp_nle_f32_e32 vcc, 0, v1
	v_cndmask_b32_e64 v1, 1.0, -1.0, vcc
	v_div_scale_f32 v14, s[16:17], v13, v13, v1
	v_div_scale_f32 v15, vcc, v1, v13, v1
	s_mov_b64 s[16:17], 0
	v_rcp_f32_e32 v16, v14
	v_fma_f32 v17, -v14, v16, 1.0
	v_fmac_f32_e32 v16, v17, v16
	v_mul_f32_e32 v17, v15, v16
	v_fma_f32 v18, -v14, v17, v15
	v_fmac_f32_e32 v17, v18, v16
	v_fma_f32 v14, -v14, v17, v15
	v_div_fmas_f32 v16, v14, v16, v17
	v_mov_b32_e32 v15, v4
	v_mov_b32_e32 v14, v3
	v_div_fixup_f32 v1, v16, v13, v1
	v_mov_b32_e32 v13, v0
.LBB1_234:                              ;   Parent Loop BB1_12 Depth=1
                                        ;     Parent Loop BB1_21 Depth=2
                                        ; =>    This Inner Loop Header: Depth=3
	global_load_dword v16, v[14:15], off
	v_add_u32_e32 v13, 0x100, v13
	v_cmp_lt_i32_e32 vcc, s68, v13
	s_or_b64 s[16:17], vcc, s[16:17]
	s_waitcnt vmcnt(0)
	v_mul_f32_e32 v16, v1, v16
	global_store_dword v[14:15], v16, off
	v_add_co_u32_e32 v14, vcc, 0x400, v14
	v_addc_co_u32_e32 v15, vcc, 0, v15, vcc
	s_andn2_b64 exec, exec, s[16:17]
	s_cbranch_execnz .LBB1_234
.LBB1_235:                              ;   in Loop: Header=BB1_21 Depth=2
	s_or_b64 exec, exec, s[14:15]
	s_waitcnt vmcnt(0)
	s_barrier
	s_and_saveexec_b64 s[16:17], s[6:7]
	s_cbranch_execz .LBB1_240
.LBB1_236:                              ;   in Loop: Header=BB1_21 Depth=2
	s_mov_b64 s[84:85], 0
	v_mov_b32_e32 v13, v0
	s_branch .LBB1_238
.LBB1_237:                              ;   in Loop: Header=BB1_238 Depth=3
	s_or_b64 exec, exec, s[14:15]
	v_add_u32_e32 v14, s50, v13
	v_ashrrev_i32_e32 v15, 31, v14
	v_lshlrev_b64 v[14:15], 2, v[14:15]
	v_mov_b32_e32 v16, s58
	v_add_co_u32_e32 v14, vcc, s36, v14
	v_addc_co_u32_e32 v15, vcc, v16, v15, vcc
	v_add_u32_e32 v13, 0x100, v13
	v_cmp_le_i32_e32 vcc, s28, v13
	s_or_b64 s[84:85], vcc, s[84:85]
	s_waitcnt vmcnt(0)
	global_store_dword v[14:15], v1, off
	s_andn2_b64 exec, exec, s[84:85]
	s_cbranch_execz .LBB1_240
.LBB1_238:                              ;   Parent Loop BB1_12 Depth=1
                                        ;     Parent Loop BB1_21 Depth=2
                                        ; =>    This Inner Loop Header: Depth=3
	v_cmp_le_i32_e32 vcc, s64, v13
	v_cmp_gt_i32_e64 s[14:15], s66, v13
	s_and_b64 s[86:87], vcc, s[14:15]
	v_mov_b32_e32 v1, 0
	s_and_saveexec_b64 s[14:15], s[86:87]
	s_cbranch_execz .LBB1_237
; %bb.239:                              ;   in Loop: Header=BB1_238 Depth=3
	v_add_u32_e32 v1, s69, v13
	v_lshlrev_b64 v[14:15], 2, v[1:2]
	v_mov_b32_e32 v1, s19
	v_add_co_u32_e32 v14, vcc, s18, v14
	v_addc_co_u32_e32 v15, vcc, v1, v15, vcc
	global_load_dword v1, v[14:15], off
	s_branch .LBB1_237
.LBB1_240:                              ;   in Loop: Header=BB1_21 Depth=2
	s_or_b64 exec, exec, s[16:17]
	s_add_i32 s49, s49, 1
	s_add_i32 s82, s82, 1
	;; [unrolled: 1-line block ×3, first 2 shown]
	s_cmp_ge_i32 s82, s48
	s_waitcnt vmcnt(0)
	s_barrier
	s_cselect_b64 s[14:15], -1, 0
	s_mov_b32 s16, s35
	s_and_b64 vcc, exec, s[14:15]
	s_cbranch_vccnz .LBB1_10
.LBB1_241:                              ;   in Loop: Header=BB1_21 Depth=2
	v_mov_b32_e32 v1, v28
	s_branch .LBB1_21
.LBB1_242:
	s_and_saveexec_b64 s[2:3], s[0:1]
	s_cbranch_execz .LBB1_244
; %bb.243:
	v_mov_b32_e32 v0, 0
	ds_read_b32 v1, v0
	v_readlane_b32 s4, v41, 4
	v_readlane_b32 s6, v41, 6
	;; [unrolled: 1-line block ×6, first 2 shown]
	s_mov_b64 s[6:7], s[10:11]
	v_readlane_b32 s1, v41, 1
	s_add_u32 s0, s6, s0
	s_addc_u32 s1, s7, s1
	v_readlane_b32 s5, v41, 5
	v_readlane_b32 s8, v41, 8
	v_readlane_b32 s9, v41, 9
	s_waitcnt lgkmcnt(0)
	global_store_dword v0, v1, s[0:1]
.LBB1_244:
	s_endpgm
	.section	.rodata,"a",@progbits
	.p2align	6, 0x0
	.amdhsa_kernel _ZN9rocsolver6v33100L12stein_kernelIffPfEEviPT0_lS4_lPiS4_lS5_lS5_lT1_iilS5_lS5_S4_S5_S3_S3_
		.amdhsa_group_segment_fixed_size 8
		.amdhsa_private_segment_fixed_size 0
		.amdhsa_kernarg_size 168
		.amdhsa_user_sgpr_count 6
		.amdhsa_user_sgpr_private_segment_buffer 1
		.amdhsa_user_sgpr_dispatch_ptr 0
		.amdhsa_user_sgpr_queue_ptr 0
		.amdhsa_user_sgpr_kernarg_segment_ptr 1
		.amdhsa_user_sgpr_dispatch_id 0
		.amdhsa_user_sgpr_flat_scratch_init 0
		.amdhsa_user_sgpr_private_segment_size 0
		.amdhsa_uses_dynamic_stack 0
		.amdhsa_system_sgpr_private_segment_wavefront_offset 0
		.amdhsa_system_sgpr_workgroup_id_x 1
		.amdhsa_system_sgpr_workgroup_id_y 1
		.amdhsa_system_sgpr_workgroup_id_z 0
		.amdhsa_system_sgpr_workgroup_info 0
		.amdhsa_system_vgpr_workitem_id 0
		.amdhsa_next_free_vgpr 42
		.amdhsa_next_free_sgpr 96
		.amdhsa_reserve_vcc 1
		.amdhsa_reserve_flat_scratch 0
		.amdhsa_float_round_mode_32 0
		.amdhsa_float_round_mode_16_64 0
		.amdhsa_float_denorm_mode_32 3
		.amdhsa_float_denorm_mode_16_64 3
		.amdhsa_dx10_clamp 1
		.amdhsa_ieee_mode 1
		.amdhsa_fp16_overflow 0
		.amdhsa_exception_fp_ieee_invalid_op 0
		.amdhsa_exception_fp_denorm_src 0
		.amdhsa_exception_fp_ieee_div_zero 0
		.amdhsa_exception_fp_ieee_overflow 0
		.amdhsa_exception_fp_ieee_underflow 0
		.amdhsa_exception_fp_ieee_inexact 0
		.amdhsa_exception_int_div_zero 0
	.end_amdhsa_kernel
	.section	.text._ZN9rocsolver6v33100L12stein_kernelIffPfEEviPT0_lS4_lPiS4_lS5_lS5_lT1_iilS5_lS5_S4_S5_S3_S3_,"axG",@progbits,_ZN9rocsolver6v33100L12stein_kernelIffPfEEviPT0_lS4_lPiS4_lS5_lS5_lT1_iilS5_lS5_S4_S5_S3_S3_,comdat
.Lfunc_end1:
	.size	_ZN9rocsolver6v33100L12stein_kernelIffPfEEviPT0_lS4_lPiS4_lS5_lS5_lT1_iilS5_lS5_S4_S5_S3_S3_, .Lfunc_end1-_ZN9rocsolver6v33100L12stein_kernelIffPfEEviPT0_lS4_lPiS4_lS5_lS5_lT1_iilS5_lS5_S4_S5_S3_S3_
                                        ; -- End function
	.set _ZN9rocsolver6v33100L12stein_kernelIffPfEEviPT0_lS4_lPiS4_lS5_lS5_lT1_iilS5_lS5_S4_S5_S3_S3_.num_vgpr, 42
	.set _ZN9rocsolver6v33100L12stein_kernelIffPfEEviPT0_lS4_lPiS4_lS5_lS5_lT1_iilS5_lS5_S4_S5_S3_S3_.num_agpr, 0
	.set _ZN9rocsolver6v33100L12stein_kernelIffPfEEviPT0_lS4_lPiS4_lS5_lS5_lT1_iilS5_lS5_S4_S5_S3_S3_.numbered_sgpr, 96
	.set _ZN9rocsolver6v33100L12stein_kernelIffPfEEviPT0_lS4_lPiS4_lS5_lS5_lT1_iilS5_lS5_S4_S5_S3_S3_.num_named_barrier, 0
	.set _ZN9rocsolver6v33100L12stein_kernelIffPfEEviPT0_lS4_lPiS4_lS5_lS5_lT1_iilS5_lS5_S4_S5_S3_S3_.private_seg_size, 0
	.set _ZN9rocsolver6v33100L12stein_kernelIffPfEEviPT0_lS4_lPiS4_lS5_lS5_lT1_iilS5_lS5_S4_S5_S3_S3_.uses_vcc, 1
	.set _ZN9rocsolver6v33100L12stein_kernelIffPfEEviPT0_lS4_lPiS4_lS5_lS5_lT1_iilS5_lS5_S4_S5_S3_S3_.uses_flat_scratch, 0
	.set _ZN9rocsolver6v33100L12stein_kernelIffPfEEviPT0_lS4_lPiS4_lS5_lS5_lT1_iilS5_lS5_S4_S5_S3_S3_.has_dyn_sized_stack, 0
	.set _ZN9rocsolver6v33100L12stein_kernelIffPfEEviPT0_lS4_lPiS4_lS5_lS5_lT1_iilS5_lS5_S4_S5_S3_S3_.has_recursion, 0
	.set _ZN9rocsolver6v33100L12stein_kernelIffPfEEviPT0_lS4_lPiS4_lS5_lS5_lT1_iilS5_lS5_S4_S5_S3_S3_.has_indirect_call, 0
	.section	.AMDGPU.csdata,"",@progbits
; Kernel info:
; codeLenInByte = 9292
; TotalNumSgprs: 100
; NumVgprs: 42
; ScratchSize: 0
; MemoryBound: 0
; FloatMode: 240
; IeeeMode: 1
; LDSByteSize: 8 bytes/workgroup (compile time only)
; SGPRBlocks: 12
; VGPRBlocks: 10
; NumSGPRsForWavesPerEU: 100
; NumVGPRsForWavesPerEU: 42
; Occupancy: 5
; WaveLimiterHint : 1
; COMPUTE_PGM_RSRC2:SCRATCH_EN: 0
; COMPUTE_PGM_RSRC2:USER_SGPR: 6
; COMPUTE_PGM_RSRC2:TRAP_HANDLER: 0
; COMPUTE_PGM_RSRC2:TGID_X_EN: 1
; COMPUTE_PGM_RSRC2:TGID_Y_EN: 1
; COMPUTE_PGM_RSRC2:TGID_Z_EN: 0
; COMPUTE_PGM_RSRC2:TIDIG_COMP_CNT: 0
	.section	.text._ZN9rocsolver6v33100L12stein_kernelIddPdEEviPT0_lS4_lPiS4_lS5_lS5_lT1_iilS5_lS5_S4_S5_S3_S3_,"axG",@progbits,_ZN9rocsolver6v33100L12stein_kernelIddPdEEviPT0_lS4_lPiS4_lS5_lS5_lT1_iilS5_lS5_S4_S5_S3_S3_,comdat
	.globl	_ZN9rocsolver6v33100L12stein_kernelIddPdEEviPT0_lS4_lPiS4_lS5_lS5_lT1_iilS5_lS5_S4_S5_S3_S3_ ; -- Begin function _ZN9rocsolver6v33100L12stein_kernelIddPdEEviPT0_lS4_lPiS4_lS5_lS5_lT1_iilS5_lS5_S4_S5_S3_S3_
	.p2align	8
	.type	_ZN9rocsolver6v33100L12stein_kernelIddPdEEviPT0_lS4_lPiS4_lS5_lS5_lT1_iilS5_lS5_S4_S5_S3_S3_,@function
_ZN9rocsolver6v33100L12stein_kernelIddPdEEviPT0_lS4_lPiS4_lS5_lS5_lT1_iilS5_lS5_S4_S5_S3_S3_: ; @_ZN9rocsolver6v33100L12stein_kernelIddPdEEviPT0_lS4_lPiS4_lS5_lS5_lT1_iilS5_lS5_S4_S5_S3_S3_
; %bb.0:
	s_load_dwordx16 s[36:51], s[4:5], 0x8
	s_mov_b32 s6, s7
	s_ashr_i32 s7, s7, 31
	s_lshl_b64 s[2:3], s[6:7], 2
	s_waitcnt lgkmcnt(0)
	s_add_u32 s0, s44, s2
	s_addc_u32 s1, s45, s3
	s_load_dword s92, s[0:1], 0x0
	s_waitcnt lgkmcnt(0)
	s_cmp_lt_i32 s92, 1
	s_cbranch_scc1 .LBB2_246
; %bb.1:
	s_load_dwordx16 s[16:31], s[4:5], 0x70
                                        ; implicit-def: $vgpr61 : SGPR spill to VGPR lane
	s_mov_b64 s[0:1], 0
	v_writelane_b32 v61, s2, 0
	v_writelane_b32 v61, s3, 1
	;; [unrolled: 1-line block ×3, first 2 shown]
	s_waitcnt lgkmcnt(0)
	s_cmp_eq_u64 s[18:19], 0
	v_writelane_b32 v61, s1, 3
	s_cbranch_scc1 .LBB2_3
; %bb.2:
	s_mul_i32 s0, s20, s7
	s_mul_hi_u32 s1, s20, s6
	s_add_i32 s0, s1, s0
	s_mul_i32 s1, s21, s6
	s_add_i32 s1, s0, s1
	s_mul_i32 s0, s20, s6
	s_lshl_b64 s[0:1], s[0:1], 2
	s_add_u32 s0, s18, s0
	s_addc_u32 s1, s19, s1
	v_writelane_b32 v61, s0, 2
	v_writelane_b32 v61, s1, 3
.LBB2_3:
	v_cmp_eq_u32_e64 s[0:1], 0, v0
	s_and_saveexec_b64 s[2:3], s[0:1]
; %bb.4:
	v_mov_b32_e32 v1, 0
	ds_write_b32 v1, v1
; %bb.5:
	s_or_b64 exec, exec, s[2:3]
	v_readlane_b32 s2, v61, 2
	v_readlane_b32 s3, v61, 3
	s_cmp_lg_u64 s[2:3], 0
	s_cselect_b64 s[18:19], -1, 0
	v_cmp_gt_u32_e32 vcc, s92, v0
	s_mov_b64 s[8:9], 0
	s_and_b64 s[2:3], vcc, s[18:19]
	v_lshlrev_b32_e32 v45, 2, v0
	s_and_saveexec_b64 s[10:11], s[2:3]
	s_cbranch_execz .LBB2_8
; %bb.6:
	v_readlane_b32 s2, v61, 2
	v_readlane_b32 s3, v61, 3
	v_mov_b32_e32 v2, s3
	v_add_co_u32_e32 v1, vcc, s2, v45
	v_mov_b32_e32 v3, 0
	v_addc_co_u32_e32 v2, vcc, 0, v2, vcc
	v_mov_b32_e32 v4, v0
.LBB2_7:                                ; =>This Inner Loop Header: Depth=1
	v_add_u32_e32 v4, 0x100, v4
	global_store_dword v[1:2], v3, off
	v_add_co_u32_e32 v1, vcc, 0x400, v1
	v_cmp_le_i32_e64 s[2:3], s92, v4
	s_or_b64 s[8:9], s[2:3], s[8:9]
	v_addc_co_u32_e32 v2, vcc, 0, v2, vcc
	s_andn2_b64 exec, exec, s[8:9]
	s_cbranch_execnz .LBB2_7
.LBB2_8:
	s_or_b64 exec, exec, s[10:11]
	s_load_dwordx8 s[8:15], s[4:5], 0x48
	s_mov_b32 s21, 0
	s_mov_b32 s93, s21
	v_mov_b32_e32 v1, 0
	s_waitcnt lgkmcnt(0)
	s_mul_i32 s3, s8, s7
	s_mul_hi_u32 s20, s8, s6
	s_mul_i32 s9, s9, s6
	s_add_i32 s3, s20, s3
	s_mul_i32 s2, s8, s6
	s_add_i32 s3, s3, s9
	s_lshl_b64 s[2:3], s[2:3], 2
	s_add_u32 s67, s50, s2
	s_addc_u32 s33, s51, s3
	s_lshl_b64 s[2:3], s[92:93], 2
	s_add_u32 s2, s67, s2
	s_addc_u32 s3, s33, s3
	v_writelane_b32 v61, s2, 4
	v_writelane_b32 v61, s3, 5
	s_nop 3
	global_load_dword v2, v1, s[2:3] offset:-4
	s_waitcnt vmcnt(0)
	v_cmp_gt_i32_e32 vcc, 1, v2
	s_cbranch_vccnz .LBB2_244
; %bb.9:
	s_load_dword s54, s[4:5], 0x0
	s_load_dwordx2 s[56:57], s[4:5], 0x68
	v_div_scale_f64 v[3:4], s[4:5], s[30:31], s[30:31], 1.0
	s_mul_i32 s2, s38, s7
	s_mul_hi_u32 s3, s38, s6
	s_add_i32 s2, s3, s2
	s_mul_i32 s3, s39, s6
	s_add_i32 s3, s2, s3
	s_mul_i32 s2, s38, s6
	s_waitcnt lgkmcnt(0)
	s_ashr_i32 s55, s54, 31
	s_lshl_b64 s[2:3], s[2:3], 3
	s_add_u32 s20, s36, s2
	s_addc_u32 s38, s37, s3
	s_mul_i32 s2, s42, s7
	s_mul_hi_u32 s3, s42, s6
	s_add_i32 s2, s3, s2
	s_mul_i32 s3, s43, s6
	v_rcp_f64_e32 v[5:6], v[3:4]
	s_add_i32 s3, s2, s3
	s_mul_i32 s2, s42, s6
	s_lshl_b64 s[2:3], s[2:3], 3
	s_add_u32 s39, s40, s2
	s_addc_u32 s50, s41, s3
	s_mul_i32 s2, s48, s7
	s_mul_hi_u32 s3, s48, s6
	s_add_i32 s2, s3, s2
	s_mul_i32 s3, s49, s6
	s_add_i32 s3, s2, s3
	s_mul_i32 s2, s48, s6
	s_lshl_b64 s[2:3], s[2:3], 3
	s_add_u32 s62, s46, s2
	s_addc_u32 s2, s47, s3
	v_writelane_b32 v61, s2, 6
	v_fma_f64 v[7:8], -v[3:4], v[5:6], 1.0
	s_mul_i32 s2, s12, s7
	s_mul_hi_u32 s3, s12, s6
	s_add_i32 s2, s3, s2
	s_mul_i32 s3, s13, s6
	v_div_scale_f64 v[9:10], vcc, 1.0, s[30:31], 1.0
	s_add_i32 s3, s2, s3
	v_fma_f64 v[5:6], v[5:6], v[7:8], v[5:6]
	s_mul_i32 s2, s12, s6
	s_lshl_b64 s[2:3], s[2:3], 2
	s_add_u32 s35, s10, s2
	s_mul_i32 s8, s54, 5
	s_addc_u32 s2, s11, s3
	v_writelane_b32 v61, s2, 7
	s_mul_hi_i32 s3, s8, s6
	v_fma_f64 v[7:8], -v[3:4], v[5:6], 1.0
	s_mul_i32 s2, s8, s6
	s_lshl_b64 s[4:5], s[2:3], 3
	s_add_u32 s36, s24, s4
	s_mul_hi_i32 s9, s54, s6
	s_mul_i32 s8, s54, s6
	s_addc_u32 s37, s25, s5
	s_lshl_b64 s[8:9], s[8:9], 2
	v_fma_f64 v[5:6], v[5:6], v[7:8], v[5:6]
	s_add_u32 s78, s26, s8
	s_mul_i32 s7, s16, s7
	s_mul_hi_u32 s10, s16, s6
	s_addc_u32 s79, s27, s9
	s_add_i32 s7, s10, s7
	s_mul_i32 s10, s17, s6
	s_add_i32 s7, s7, s10
	s_mul_i32 s6, s16, s6
	s_ashr_i32 s9, s56, 31
	s_lshl_b64 s[6:7], s[6:7], 3
	s_mov_b32 s8, s56
	s_add_u32 s10, s14, s6
	s_addc_u32 s11, s15, s7
	s_lshl_b64 s[6:7], s[8:9], 3
	s_add_u32 s56, s10, s6
	s_mul_i32 s14, s54, 3
	s_addc_u32 s72, s11, s7
	s_ashr_i32 s15, s14, 31
	v_mul_f64 v[7:8], v[9:10], v[5:6]
	s_lshl_b64 s[6:7], s[14:15], 3
	s_add_u32 s40, s36, s6
	s_addc_u32 s41, s37, s7
	s_lshl_b64 s[8:9], s[54:55], 4
	s_sub_u32 s73, 0, s8
	s_subb_u32 s58, 0, s9
	s_add_u32 s42, s40, s73
	s_addc_u32 s43, s41, s58
	s_lshl_b64 s[10:11], s[54:55], 3
	s_add_u32 s46, s42, s10
	v_fma_f64 v[3:4], -v[3:4], v[7:8], v[9:10]
	s_addc_u32 s47, s43, s11
	s_add_u32 s48, s46, s8
	s_addc_u32 s49, s47, s9
	s_and_b64 s[80:81], s[0:1], s[18:19]
	s_add_u32 s12, s39, 8
	v_writelane_b32 v61, s12, 8
	s_addc_u32 s12, s50, 0
	v_writelane_b32 v61, s12, 9
	s_add_u32 s12, s20, 8
	v_writelane_b32 v61, s12, 10
	s_addc_u32 s12, s38, 0
	s_add_u32 s6, s4, s6
	v_div_fmas_f64 v[11:12], v[3:4], v[5:6], v[7:8]
	s_addc_u32 s7, s5, s7
	v_writelane_b32 v61, s12, 11
	s_add_u32 s12, s24, s6
	v_lshlrev_b32_e32 v13, 3, v0
	s_addc_u32 s13, s25, s7
	s_lshl_b32 s59, s54, 1
	v_mov_b32_e32 v4, s37
	v_add_co_u32_e32 v3, vcc, s36, v13
	v_add_u32_e32 v7, s54, v0
	s_sub_u32 s4, s6, s8
	v_addc_co_u32_e32 v4, vcc, 0, v4, vcc
	v_ashrrev_i32_e32 v8, 31, v7
	s_subb_u32 s5, s7, s9
	v_mov_b32_e32 v6, s13
	v_add_co_u32_e32 v5, vcc, s12, v13
	v_lshlrev_b64 v[7:8], 3, v[7:8]
	v_writelane_b32 v61, s4, 12
	v_addc_co_u32_e32 v6, vcc, 0, v6, vcc
	v_writelane_b32 v61, s5, 13
	s_add_u32 s2, s2, s14
	s_mov_b32 s4, s14
	v_mov_b32_e32 v9, s37
	v_add_co_u32_e32 v7, vcc, s36, v7
	v_writelane_b32 v61, s4, 14
	s_addc_u32 s3, s3, s15
	v_addc_co_u32_e32 v8, vcc, v9, v8, vcc
	v_max_f64 v[9:10], s[28:29], s[28:29]
	v_writelane_b32 v61, s5, 15
	s_add_u32 s4, s2, s54
	s_addc_u32 s5, s3, s55
	s_lshl_b64 s[4:5], s[4:5], 3
	s_lshl_b64 s[2:3], s[2:3], 3
	v_writelane_b32 v61, s4, 16
	s_sub_u32 s2, s2, s10
	v_writelane_b32 v61, s5, 17
	s_subb_u32 s3, s3, s11
	v_writelane_b32 v61, s2, 18
	v_writelane_b32 v61, s3, 19
	s_add_u32 s2, s6, 8
	s_addc_u32 s3, s7, 0
	v_max_f64 v[9:10], v[9:10], 0
	v_div_fixup_f64 v[11:12], v[11:12], s[30:31], 1.0
	v_writelane_b32 v61, s2, 20
	v_writelane_b32 v61, s3, 21
	v_writelane_b32 v61, s20, 22
	s_add_u32 s68, s12, 16
	v_writelane_b32 v61, s38, 23
	s_addc_u32 s69, s13, 0
	v_writelane_b32 v61, s39, 24
	v_add_co_u32_e32 v7, vcc, 8, v7
	v_add_u32_e32 v46, 8, v13
	s_add_u32 s70, s36, 8
	s_mov_b32 s76, 0xff800000
	s_movk_i32 s2, 0x80
	v_writelane_b32 v61, s50, 25
	v_addc_co_u32_e32 v8, vcc, 0, v8, vcc
	v_sub_u32_e32 v47, v46, v45
	s_addc_u32 s71, s37, 0
	v_mov_b32_e32 v48, 0x260
	s_mov_b32 s77, 0x41dfffff
	v_mov_b32_e32 v49, 1
	v_mov_b32_e32 v50, 0x3ff00000
	;; [unrolled: 1-line block ×3, first 2 shown]
	v_cmp_gt_u32_e64 s[2:3], s2, v0
	s_brev_b32 s55, -2
	s_movk_i32 s45, 0x800
	s_mov_b32 s7, 0
	v_cmp_gt_u32_e64 s[4:5], 64, v0
	v_cmp_gt_i32_e64 s[90:91], s54, v0
	s_mov_b32 s82, s21
	v_writelane_b32 v61, s35, 26
                                        ; implicit-def: $vgpr27_vgpr28
                                        ; implicit-def: $vgpr15_vgpr16
                                        ; implicit-def: $vgpr17_vgpr18
                                        ; implicit-def: $vgpr13_vgpr14
                                        ; implicit-def: $sgpr85
	v_writelane_b32 v61, s62, 27
	s_branch .LBB2_12
.LBB2_10:                               ;   in Loop: Header=BB2_12 Depth=1
	v_readlane_b32 s8, v61, 4
	v_readlane_b32 s9, v61, 5
	s_mov_b32 s7, s18
	v_readlane_b32 s20, v61, 22
	v_readlane_b32 s38, v61, 23
	;; [unrolled: 1-line block ×4, first 2 shown]
	global_load_dword v2, v1, s[8:9] offset:-4
	v_readlane_b32 s35, v61, 26
.LBB2_11:                               ;   in Loop: Header=BB2_12 Depth=1
	s_add_i32 s82, s82, 1
	s_waitcnt vmcnt(0)
	v_cmp_ge_i32_e32 vcc, s82, v2
	s_cbranch_vccnz .LBB2_244
.LBB2_12:                               ; =>This Loop Header: Depth=1
                                        ;     Child Loop BB2_17 Depth 2
                                        ;     Child Loop BB2_22 Depth 2
                                        ;       Child Loop BB2_32 Depth 3
                                        ;       Child Loop BB2_35 Depth 3
	;; [unrolled: 1-line block ×4, first 2 shown]
                                        ;         Child Loop BB2_68 Depth 4
                                        ;         Child Loop BB2_105 Depth 4
	;; [unrolled: 1-line block ×5, first 2 shown]
                                        ;           Child Loop BB2_124 Depth 5
                                        ;         Child Loop BB2_138 Depth 4
                                        ;           Child Loop BB2_139 Depth 5
                                        ;           Child Loop BB2_141 Depth 5
                                        ;         Child Loop BB2_146 Depth 4
                                        ;       Child Loop BB2_187 Depth 3
                                        ;       Child Loop BB2_224 Depth 3
	;; [unrolled: 1-line block ×4, first 2 shown]
	s_mov_b32 s84, 0
	s_cmp_eq_u32 s82, 0
	s_mov_b64 s[8:9], 0
	v_readlane_b32 s6, v61, 7
	s_cbranch_scc1 .LBB2_14
; %bb.13:                               ;   in Loop: Header=BB2_12 Depth=1
	s_mov_b32 s83, s21
	s_lshl_b64 s[8:9], s[82:83], 2
	s_add_u32 s8, s35, s8
	s_addc_u32 s9, s6, s9
	global_load_dword v19, v1, s[8:9] offset:-4
	s_mov_b64 s[8:9], s[82:83]
	s_waitcnt vmcnt(0)
	v_readfirstlane_b32 s84, v19
.LBB2_14:                               ;   in Loop: Header=BB2_12 Depth=1
	s_lshl_b64 s[8:9], s[8:9], 2
	s_add_u32 s8, s35, s8
	s_addc_u32 s9, s6, s9
	global_load_dword v19, v1, s[8:9]
	s_not_b32 s8, s84
	s_waitcnt vmcnt(0)
	v_readfirstlane_b32 s86, v19
	s_add_i32 s88, s8, s86
	s_cmp_lt_i32 s88, 1
	s_cselect_b64 s[64:65], -1, 0
	v_subrev_u32_e32 v52, s84, v19
	s_and_b64 vcc, exec, s[64:65]
	s_cbranch_vccnz .LBB2_19
; %bb.15:                               ;   in Loop: Header=BB2_12 Depth=1
	s_ashr_i32 s85, s84, 31
	s_lshl_b64 s[10:11], s[84:85], 3
	s_add_u32 s8, s20, s10
	s_addc_u32 s9, s38, s11
	s_add_u32 s14, s39, s10
	s_addc_u32 s15, s50, s11
	s_ashr_i32 s87, s86, 31
	s_lshl_b64 s[16:17], s[86:87], 3
	s_add_u32 s18, s20, s16
	s_addc_u32 s19, s38, s17
	s_add_i32 s12, s86, -2
	s_add_u32 s16, s39, s16
	s_addc_u32 s17, s50, s17
	global_load_dwordx2 v[13:14], v1, s[8:9]
	global_load_dwordx2 v[15:16], v1, s[14:15]
	global_load_dwordx2 v[17:18], v1, s[18:19] offset:-8
	global_load_dwordx2 v[19:20], v1, s[16:17] offset:-16
	s_cmp_ge_i32 s84, s12
	s_waitcnt vmcnt(2)
	v_add_f64 v[13:14], |v[13:14]|, |v[15:16]|
	s_waitcnt vmcnt(0)
	v_add_f64 v[17:18], |v[17:18]|, |v[19:20]|
	v_cmp_lt_f64_e32 vcc, v[13:14], v[17:18]
	v_cndmask_b32_e32 v14, v14, v18, vcc
	v_cndmask_b32_e32 v13, v13, v17, vcc
	s_cbranch_scc1 .LBB2_18
; %bb.16:                               ;   in Loop: Header=BB2_12 Depth=1
	v_readlane_b32 s6, v61, 8
	s_add_u32 s8, s6, s10
	v_readlane_b32 s6, v61, 9
	s_addc_u32 s9, s6, s11
	v_readlane_b32 s6, v61, 10
	s_add_u32 s10, s6, s10
	v_readlane_b32 s6, v61, 11
	s_addc_u32 s11, s6, s11
	s_mov_b32 s13, s84
.LBB2_17:                               ;   Parent Loop BB2_12 Depth=1
                                        ; =>  This Inner Loop Header: Depth=2
	global_load_dwordx2 v[17:18], v1, s[10:11]
	s_add_i32 s13, s13, 1
	s_waitcnt vmcnt(0)
	v_add_f64 v[17:18], |v[15:16]|, |v[17:18]|
	global_load_dwordx2 v[15:16], v1, s[8:9]
	s_add_u32 s8, s8, 8
	s_addc_u32 s9, s9, 0
	s_add_u32 s10, s10, 8
	s_addc_u32 s11, s11, 0
	s_cmp_lt_i32 s13, s12
	s_waitcnt vmcnt(0)
	v_add_f64 v[17:18], v[17:18], |v[15:16]|
	v_cmp_lt_f64_e32 vcc, v[13:14], v[17:18]
	v_cndmask_b32_e32 v14, v14, v18, vcc
	v_cndmask_b32_e32 v13, v13, v17, vcc
	s_cbranch_scc1 .LBB2_17
.LBB2_18:                               ;   in Loop: Header=BB2_12 Depth=1
	v_cvt_f64_u32_e32 v[15:16], v52
	s_mov_b32 s10, 0x9999999a
	s_mov_b32 s11, 0x3fb99999
	;; [unrolled: 1-line block ×3, first 2 shown]
	v_div_scale_f64 v[17:18], s[8:9], v[15:16], v[15:16], s[10:11]
	s_mov_b32 s8, 0
	s_brev_b32 s9, 8
	v_rcp_f64_e32 v[19:20], v[17:18]
	v_fma_f64 v[21:22], -v[17:18], v[19:20], 1.0
	v_fma_f64 v[19:20], v[19:20], v[21:22], v[19:20]
	v_div_scale_f64 v[21:22], vcc, s[10:11], v[15:16], s[10:11]
	v_fma_f64 v[23:24], -v[17:18], v[19:20], 1.0
	v_fma_f64 v[19:20], v[19:20], v[23:24], v[19:20]
	v_mul_f64 v[23:24], v[21:22], v[19:20]
	v_fma_f64 v[17:18], -v[17:18], v[23:24], v[21:22]
	v_div_fmas_f64 v[17:18], v[17:18], v[19:20], v[23:24]
	v_div_fixup_f64 v[15:16], v[17:18], v[15:16], s[10:11]
	v_cmp_gt_f64_e32 vcc, s[8:9], v[15:16]
	s_and_b64 s[8:9], vcc, exec
	s_cselect_b32 s8, 0x100, 0
	v_ldexp_f64 v[15:16], v[15:16], s8
	s_cselect_b32 s8, 0xffffff80, 0
	v_rsq_f64_e32 v[17:18], v[15:16]
	v_cmp_class_f64_e32 vcc, v[15:16], v48
	v_mul_f64 v[19:20], v[15:16], v[17:18]
	v_mul_f64 v[17:18], v[17:18], 0.5
	v_fma_f64 v[21:22], -v[17:18], v[19:20], 0.5
	v_fma_f64 v[19:20], v[19:20], v[21:22], v[19:20]
	v_fma_f64 v[17:18], v[17:18], v[21:22], v[17:18]
	v_fma_f64 v[21:22], -v[19:20], v[19:20], v[15:16]
	v_fma_f64 v[19:20], v[21:22], v[17:18], v[19:20]
	v_fma_f64 v[21:22], -v[19:20], v[19:20], v[15:16]
	v_fma_f64 v[17:18], v[21:22], v[17:18], v[19:20]
	v_ldexp_f64 v[19:20], v[17:18], s8
	s_mov_b32 s8, 0xd2f1a9fc
	s_mov_b32 s9, 0x3f50624d
	v_mul_f64 v[17:18], v[13:14], s[8:9]
	v_cndmask_b32_e32 v16, v20, v16, vcc
	v_cndmask_b32_e32 v15, v19, v15, vcc
.LBB2_19:                               ;   in Loop: Header=BB2_12 Depth=1
	s_cmp_ge_i32 s7, s92
	s_cbranch_scc1 .LBB2_11
; %bb.20:                               ;   in Loop: Header=BB2_12 Depth=1
	v_cmp_gt_i32_e64 s[10:11], s88, v0
	v_writelane_b32 v61, s10, 28
	s_ashr_i32 s87, s86, 31
	v_writelane_b32 v61, s11, 29
	s_lshl_b64 s[10:11], s[86:87], 3
	s_add_u32 s10, s20, s10
	s_addc_u32 s11, s38, s11
	v_writelane_b32 v61, s10, 30
	v_writelane_b32 v61, s11, 31
	v_readlane_b32 s10, v61, 14
	v_readlane_b32 s11, v61, 15
	s_add_i32 s10, s88, s10
	v_cvt_f64_u32_e32 v[19:20], v52
	s_ashr_i32 s11, s10, 31
	s_lshl_b64 s[10:11], s[10:11], 3
	s_add_u32 s94, s36, s10
	s_mov_b32 s89, s21
	s_addc_u32 s95, s37, s11
	s_lshl_b64 s[10:11], s[88:89], 2
	v_mul_f64 v[19:20], v[13:14], v[19:20]
	v_add_u32_e32 v21, s84, v0
	s_add_u32 s34, s78, s10
	v_ashrrev_i32_e32 v22, 31, v21
	s_addc_u32 s35, s79, s11
	s_add_i32 s83, s88, -1
	s_lshl_b64 s[10:11], s[88:89], 3
	v_lshlrev_b64 v[23:24], 3, v[21:22]
	s_add_u32 s10, s40, s10
	s_addc_u32 s11, s41, s11
	v_mov_b32_e32 v2, s38
	v_add_co_u32_e32 v21, vcc, s20, v23
	v_writelane_b32 v61, s10, 32
	v_addc_co_u32_e32 v22, vcc, v2, v24, vcc
	v_writelane_b32 v61, s11, 33
	v_mov_b32_e32 v2, s50
	v_add_co_u32_e32 v23, vcc, s39, v23
	v_cmp_ge_i32_e64 s[8:9], s88, v0
	v_cmp_lt_u32_e64 s[12:13], v0, v52
	v_cmp_lt_u32_e64 s[14:15], 2, v52
	v_addc_co_u32_e32 v24, vcc, v2, v24, vcc
	s_sub_i32 s87, s86, s84
	s_mov_b32 s10, 0
	s_sub_i32 s89, 0, s84
	s_mul_i32 s11, s57, s7
	s_mov_b32 s50, s7
	v_writelane_b32 v61, s64, 34
	v_writelane_b32 v61, s65, 35
	s_branch .LBB2_22
.LBB2_21:                               ;   in Loop: Header=BB2_22 Depth=2
	s_mov_b32 s18, s50
                                        ; implicit-def: $sgpr10
                                        ; implicit-def: $sgpr11
	s_and_b64 vcc, exec, s[16:17]
	s_cbranch_vccnz .LBB2_10
.LBB2_22:                               ;   Parent Loop BB2_12 Depth=1
                                        ; =>  This Loop Header: Depth=2
                                        ;       Child Loop BB2_32 Depth 3
                                        ;       Child Loop BB2_35 Depth 3
	;; [unrolled: 1-line block ×4, first 2 shown]
                                        ;         Child Loop BB2_68 Depth 4
                                        ;         Child Loop BB2_105 Depth 4
	;; [unrolled: 1-line block ×5, first 2 shown]
                                        ;           Child Loop BB2_124 Depth 5
                                        ;         Child Loop BB2_138 Depth 4
                                        ;           Child Loop BB2_139 Depth 5
                                        ;           Child Loop BB2_141 Depth 5
                                        ;         Child Loop BB2_146 Depth 4
                                        ;       Child Loop BB2_187 Depth 3
                                        ;       Child Loop BB2_224 Depth 3
	;; [unrolled: 1-line block ×4, first 2 shown]
	s_ashr_i32 s51, s50, 31
	s_lshl_b64 s[16:17], s[50:51], 2
	s_add_u32 s16, s67, s16
	s_addc_u32 s17, s33, s17
	global_load_dword v2, v1, s[16:17]
	s_mov_b64 s[16:17], -1
	s_waitcnt vmcnt(0)
	v_add_u32_e32 v2, -1, v2
	v_cmp_ne_u32_e32 vcc, s82, v2
	s_cbranch_vccnz .LBB2_21
; %bb.23:                               ;   in Loop: Header=BB2_22 Depth=2
	s_lshl_b64 s[16:17], s[50:51], 3
	s_add_u32 s16, s62, s16
	v_readlane_b32 s6, v61, 6
	s_addc_u32 s17, s6, s17
	global_load_dwordx2 v[25:26], v1, s[16:17]
	s_mov_b64 s[16:17], -1
	s_and_b64 vcc, exec, s[64:65]
	s_cbranch_vccz .LBB2_27
; %bb.24:                               ;   in Loop: Header=BB2_22 Depth=2
	s_and_saveexec_b64 s[16:17], s[0:1]
	s_cbranch_execz .LBB2_26
; %bb.25:                               ;   in Loop: Header=BB2_22 Depth=2
	v_mov_b32_e32 v2, v50
	global_store_dwordx2 v1, v[1:2], s[36:37]
.LBB2_26:                               ;   in Loop: Header=BB2_22 Depth=2
	s_or_b64 exec, exec, s[16:17]
	s_waitcnt vmcnt(0)
	s_barrier
	s_mov_b64 s[16:17], 0
.LBB2_27:                               ;   in Loop: Header=BB2_22 Depth=2
	s_and_b64 vcc, exec, s[16:17]
	s_cbranch_vccz .LBB2_238
; %bb.28:                               ;   in Loop: Header=BB2_22 Depth=2
	s_cmp_lg_u32 s10, 0
	s_cselect_b64 s[38:39], -1, 0
	s_cmp_eq_u32 s10, 0
	s_cbranch_scc1 .LBB2_30
; %bb.29:                               ;   in Loop: Header=BB2_22 Depth=2
	s_waitcnt vmcnt(0)
	v_mul_f64 v[29:30], s[28:29], v[25:26]
	s_mov_b32 s16, 0
	s_mov_b32 s17, 0x40240000
	v_add_f64 v[31:32], v[25:26], -v[27:28]
	v_mul_f64 v[33:34], |v[29:30]|, s[16:17]
	v_fma_f64 v[29:30], |v[29:30]|, s[16:17], v[27:28]
	v_cmp_lt_f64_e32 vcc, v[31:32], v[33:34]
	v_cndmask_b32_e32 v26, v26, v30, vcc
	v_cndmask_b32_e32 v25, v25, v29, vcc
.LBB2_30:                               ;   in Loop: Header=BB2_22 Depth=2
	s_and_saveexec_b64 s[16:17], s[8:9]
	s_cbranch_execz .LBB2_33
; %bb.31:                               ;   in Loop: Header=BB2_22 Depth=2
	s_mul_i32 s18, s82, s92
	s_add_i32 s18, s50, s18
	v_lshl_or_b32 v2, s18, 8, v0
	v_add_u32_e32 v29, 1, v2
	s_mov_b32 s18, 0x40000001
	v_mul_hi_i32 v30, v29, s18
	v_sub_u32_e32 v31, 0x7ffffffe, v2
	v_sub_u32_e32 v32, 0xf7, v2
	s_mov_b32 s18, 0x7fffff07
	v_lshrrev_b32_e32 v33, 31, v30
	v_ashrrev_i32_e32 v30, 29, v30
	v_add_u32_e32 v30, v30, v33
	v_mul_lo_u32 v30, v30, s55
	v_max_u32_e32 v32, 1, v32
	v_cmp_gt_u32_e32 vcc, s18, v31
	s_mov_b32 s18, 0x7ffffffe
	v_cndmask_b32_e32 v31, v32, v31, vcc
	v_cmp_ne_u32_e32 vcc, s18, v2
	v_sub_u32_e32 v2, v29, v30
	v_mov_b32_e32 v30, v4
	v_cndmask_b32_e32 v31, 1, v31, vcc
	v_max_i32_e32 v32, 1, v2
	s_mov_b64 s[18:19], 0
	v_mov_b32_e32 v29, v3
	v_mov_b32_e32 v2, v0
.LBB2_32:                               ;   Parent Loop BB2_12 Depth=1
                                        ;     Parent Loop BB2_22 Depth=2
                                        ; =>    This Inner Loop Header: Depth=3
	s_mov_b32 s20, 0x5e4789c9
	s_mov_b32 s26, 0x4f7a09cd
	v_mul_hi_i32 v33, v32, s20
	v_mul_hi_i32 v34, v31, s26
	s_mov_b32 s27, 0xbc8f
	s_mov_b32 s51, 0x9ef4
	v_lshrrev_b32_e32 v35, 31, v33
	v_ashrrev_i32_e32 v33, 14, v33
	v_lshrrev_b32_e32 v36, 31, v34
	v_ashrrev_i32_e32 v34, 14, v34
	v_add_u32_e32 v33, v33, v35
	v_add_u32_e32 v34, v34, v36
	v_mul_i32_i24_e32 v35, 0xadc8, v33
	v_mul_i32_i24_e32 v36, 0xce26, v34
	v_sub_u32_e32 v32, v32, v35
	v_sub_u32_e32 v31, v31, v36
	v_mul_lo_u32 v32, v32, s27
	v_mul_lo_u32 v31, v31, s51
	s_movk_i32 s52, 0xf2b9
	s_movk_i32 s53, 0xf131
	v_mad_i32_i24 v32, v33, s52, v32
	v_mad_i32_i24 v31, v34, s53, v31
	v_ashrrev_i32_e32 v33, 31, v32
	v_ashrrev_i32_e32 v34, 31, v31
	v_and_b32_e32 v33, 0x7fffffff, v33
	v_and_b32_e32 v34, 0x7fffff07, v34
	v_add_u32_e32 v32, v33, v32
	v_add_u32_e32 v31, v34, v31
	v_sub_u32_e32 v33, v32, v31
	v_ashrrev_i32_e32 v34, 31, v33
	v_and_b32_e32 v34, 0x7fffffff, v34
	v_add_u32_e32 v33, v34, v33
	v_cvt_f64_i32_e32 v[33:34], v33
	v_add_u32_e32 v2, 0x100, v2
	v_div_scale_f64 v[35:36], s[26:27], s[76:77], s[76:77], v[33:34]
	v_rcp_f64_e32 v[37:38], v[35:36]
	v_fma_f64 v[39:40], -v[35:36], v[37:38], 1.0
	v_fma_f64 v[37:38], v[37:38], v[39:40], v[37:38]
	v_div_scale_f64 v[39:40], vcc, v[33:34], s[76:77], v[33:34]
	v_fma_f64 v[41:42], -v[35:36], v[37:38], 1.0
	v_fma_f64 v[37:38], v[37:38], v[41:42], v[37:38]
	v_mul_f64 v[41:42], v[39:40], v[37:38]
	v_fma_f64 v[35:36], -v[35:36], v[41:42], v[39:40]
	v_div_fmas_f64 v[35:36], v[35:36], v[37:38], v[41:42]
	v_cmp_lt_i32_e32 vcc, s88, v2
	s_or_b64 s[18:19], vcc, s[18:19]
	v_div_fixup_f64 v[33:34], v[35:36], s[76:77], v[33:34]
	global_store_dwordx2 v[29:30], v[33:34], off
	v_add_co_u32_e32 v29, vcc, 0x800, v29
	v_addc_co_u32_e32 v30, vcc, 0, v30, vcc
	s_andn2_b64 exec, exec, s[18:19]
	s_cbranch_execnz .LBB2_32
.LBB2_33:                               ;   in Loop: Header=BB2_22 Depth=2
	s_or_b64 exec, exec, s[16:17]
	s_mov_b64 s[26:27], exec
	v_readlane_b32 s16, v61, 28
	v_readlane_b32 s17, v61, 29
	s_and_b64 s[16:17], s[26:27], s[16:17]
	s_mov_b64 exec, s[16:17]
	s_cbranch_execz .LBB2_36
; %bb.34:                               ;   in Loop: Header=BB2_22 Depth=2
	v_mov_b32_e32 v30, v24
	v_mov_b32_e32 v32, v22
	;; [unrolled: 1-line block ×4, first 2 shown]
	s_mov_b64 s[60:61], 0
	v_mov_b32_e32 v29, v23
	v_mov_b32_e32 v31, v21
	;; [unrolled: 1-line block ×5, first 2 shown]
.LBB2_35:                               ;   Parent Loop BB2_12 Depth=1
                                        ;     Parent Loop BB2_22 Depth=2
                                        ; =>    This Inner Loop Header: Depth=3
	global_load_dwordx2 v[37:38], v[31:32], off
	v_add_u32_e32 v39, s59, v2
	v_ashrrev_i32_e32 v40, 31, v39
	v_add_u32_e32 v2, 0x100, v2
	v_lshlrev_b64 v[39:40], 3, v[39:40]
	v_cmp_le_i32_e32 vcc, s88, v2
	v_mov_b32_e32 v41, s37
	s_or_b64 s[60:61], vcc, s[60:61]
	v_add_co_u32_e32 v39, vcc, s36, v39
	v_addc_co_u32_e32 v40, vcc, v41, v40, vcc
	s_waitcnt vmcnt(0)
	global_store_dwordx2 v[35:36], v[37:38], off
	global_load_dwordx2 v[37:38], v[29:30], off
	v_add_co_u32_e32 v35, vcc, s45, v35
	v_addc_co_u32_e32 v36, vcc, 0, v36, vcc
	s_waitcnt vmcnt(0)
	global_store_dwordx2 v[39:40], v[37:38], off
	global_store_dwordx2 v[33:34], v[37:38], off
	v_add_co_u32_e32 v33, vcc, s45, v33
	s_mov_b64 s[16:17], vcc
	v_add_co_u32_e32 v31, vcc, 0x800, v31
	s_mov_b64 s[18:19], vcc
	v_addc_co_u32_e64 v34, vcc, 0, v34, s[16:17]
	v_add_co_u32_e32 v29, vcc, 0x800, v29
	v_addc_co_u32_e64 v32, s[16:17], 0, v32, s[18:19]
	v_addc_co_u32_e32 v30, vcc, 0, v30, vcc
	s_andn2_b64 exec, exec, s[60:61]
	s_cbranch_execnz .LBB2_35
.LBB2_36:                               ;   in Loop: Header=BB2_22 Depth=2
	s_or_b64 exec, exec, s[26:27]
	s_and_saveexec_b64 s[16:17], s[0:1]
	s_cbranch_execz .LBB2_38
; %bb.37:                               ;   in Loop: Header=BB2_22 Depth=2
	v_readlane_b32 s18, v61, 30
	v_readlane_b32 s19, v61, 31
	s_nop 4
	global_load_dwordx2 v[29:30], v1, s[18:19] offset:-8
	s_waitcnt vmcnt(0)
	global_store_dwordx2 v1, v[29:30], s[94:95]
.LBB2_38:                               ;   in Loop: Header=BB2_22 Depth=2
	s_or_b64 exec, exec, s[16:17]
	s_waitcnt vmcnt(0)
	s_barrier
	s_and_saveexec_b64 s[16:17], s[0:1]
	s_cbranch_execz .LBB2_65
; %bb.39:                               ;   in Loop: Header=BB2_22 Depth=2
	global_load_dwordx2 v[29:30], v1, s[40:41]
	v_readlane_b32 s18, v61, 20
	v_readlane_b32 s74, v61, 18
	;; [unrolled: 1-line block ×4, first 2 shown]
	s_mov_b32 s44, s7
	s_mov_b32 s7, s67
	;; [unrolled: 1-line block ×3, first 2 shown]
	s_mov_b64 s[92:93], s[90:91]
	s_mov_b64 s[90:91], s[80:81]
	s_mov_b32 s20, 1
	v_readlane_b32 s19, v61, 21
	v_readlane_b32 s75, v61, 19
	s_mov_b64 s[26:27], s[78:79]
	v_readlane_b32 s63, v61, 17
	v_readlane_b32 s61, v61, 13
	global_store_dword v1, v1, s[34:35]
	s_waitcnt vmcnt(1)
	v_add_f64 v[29:30], v[29:30], -v[25:26]
	global_store_dwordx2 v1, v[29:30], s[40:41]
	global_load_dwordx2 v[31:32], v1, s[42:43] offset:8
	s_waitcnt vmcnt(0)
	v_add_f64 v[29:30], |v[29:30]|, |v[31:32]|
	s_branch .LBB2_41
.LBB2_40:                               ;   in Loop: Header=BB2_41 Depth=3
	s_add_u32 s60, s60, 8
	s_addc_u32 s61, s61, 0
	s_add_u32 s62, s62, 8
	s_addc_u32 s63, s63, 0
	;; [unrolled: 2-line block ×4, first 2 shown]
	s_add_i32 s20, s20, 1
	s_add_u32 s18, s18, 8
	s_addc_u32 s19, s19, 0
	s_cmp_eq_u32 s87, s20
	s_cbranch_scc1 .LBB2_62
.LBB2_41:                               ;   Parent Loop BB2_12 Depth=1
                                        ;     Parent Loop BB2_22 Depth=2
                                        ; =>    This Inner Loop Header: Depth=3
	s_add_i32 s51, s20, -1
	s_add_u32 s80, s24, s18
	s_addc_u32 s81, s25, s19
	global_load_dwordx2 v[31:32], v1, s[80:81]
	s_add_u32 s66, s24, s74
	s_addc_u32 s67, s25, s75
	s_cmp_lt_u32 s51, s83
	s_cselect_b64 s[64:65], -1, 0
	s_cmp_ge_u32 s51, s83
	s_waitcnt vmcnt(0)
	v_add_f64 v[35:36], v[31:32], -v[25:26]
	global_store_dwordx2 v1, v[35:36], s[80:81]
	global_load_dwordx2 v[37:38], v1, s[66:67]
	s_waitcnt vmcnt(0)
	v_add_f64 v[31:32], |v[35:36]|, |v[37:38]|
	s_cbranch_scc1 .LBB2_43
; %bb.42:                               ;   in Loop: Header=BB2_41 Depth=3
	s_add_u32 s52, s24, s60
	s_addc_u32 s53, s25, s61
	global_load_dwordx2 v[33:34], v1, s[52:53] offset:16
	s_waitcnt vmcnt(0)
	v_add_f64 v[31:32], v[31:32], |v[33:34]|
.LBB2_43:                               ;   in Loop: Header=BB2_41 Depth=3
	global_load_dwordx2 v[41:42], v1, s[80:81] offset:-8
	s_waitcnt vmcnt(0)
	v_cmp_eq_f64_e32 vcc, 0, v[41:42]
	s_cbranch_vccnz .LBB2_54
; %bb.44:                               ;   in Loop: Header=BB2_41 Depth=3
	v_and_b32_e32 v34, 0x7fffffff, v42
	v_mov_b32_e32 v33, v41
	v_div_scale_f64 v[39:40], s[52:53], v[29:30], v[29:30], v[33:34]
	v_div_scale_f64 v[33:34], vcc, v[33:34], v[29:30], v[33:34]
	v_rcp_f64_e32 v[43:44], v[39:40]
	v_fma_f64 v[53:54], -v[39:40], v[43:44], 1.0
	v_fma_f64 v[43:44], v[43:44], v[53:54], v[43:44]
	v_fma_f64 v[53:54], -v[39:40], v[43:44], 1.0
	v_fma_f64 v[43:44], v[43:44], v[53:54], v[43:44]
	v_mul_f64 v[53:54], v[33:34], v[43:44]
	v_fma_f64 v[33:34], -v[39:40], v[53:54], v[33:34]
	v_div_fmas_f64 v[33:34], v[33:34], v[43:44], v[53:54]
	v_div_fixup_f64 v[33:34], v[33:34], v[29:30], |v[41:42]|
	v_cmp_neq_f64_e32 vcc, 0, v[37:38]
	s_cbranch_vccz .LBB2_55
.LBB2_45:                               ;   in Loop: Header=BB2_41 Depth=3
	v_and_b32_e32 v40, 0x7fffffff, v38
	v_mov_b32_e32 v39, v37
	v_div_scale_f64 v[43:44], s[52:53], v[31:32], v[31:32], v[39:40]
	v_div_scale_f64 v[39:40], vcc, v[39:40], v[31:32], v[39:40]
	s_mov_b64 s[52:53], -1
	v_rcp_f64_e32 v[53:54], v[43:44]
	v_fma_f64 v[55:56], -v[43:44], v[53:54], 1.0
	v_fma_f64 v[53:54], v[53:54], v[55:56], v[53:54]
	v_fma_f64 v[55:56], -v[43:44], v[53:54], 1.0
	v_fma_f64 v[53:54], v[53:54], v[55:56], v[53:54]
	v_mul_f64 v[55:56], v[39:40], v[53:54]
	v_fma_f64 v[39:40], -v[43:44], v[55:56], v[39:40]
	v_div_fmas_f64 v[39:40], v[39:40], v[53:54], v[55:56]
	v_div_fixup_f64 v[39:40], v[39:40], v[31:32], |v[37:38]|
	v_cmp_nle_f64_e32 vcc, v[39:40], v[33:34]
	s_cbranch_vccnz .LBB2_49
; %bb.46:                               ;   in Loop: Header=BB2_41 Depth=3
	v_div_scale_f64 v[43:44], s[52:53], v[41:42], v[41:42], v[37:38]
	s_add_u32 s52, s24, s60
	s_addc_u32 s53, s25, s61
	v_rcp_f64_e32 v[53:54], v[43:44]
	v_fma_f64 v[55:56], -v[43:44], v[53:54], 1.0
	v_fma_f64 v[53:54], v[53:54], v[55:56], v[53:54]
	v_div_scale_f64 v[55:56], vcc, v[37:38], v[41:42], v[37:38]
	v_fma_f64 v[57:58], -v[43:44], v[53:54], 1.0
	v_fma_f64 v[53:54], v[53:54], v[57:58], v[53:54]
	v_mul_f64 v[57:58], v[55:56], v[53:54]
	v_fma_f64 v[43:44], -v[43:44], v[57:58], v[55:56]
	v_div_fmas_f64 v[43:44], v[43:44], v[53:54], v[57:58]
	s_andn2_b64 vcc, exec, s[64:65]
	v_div_fixup_f64 v[43:44], v[43:44], v[41:42], v[37:38]
	global_store_dwordx2 v1, v[43:44], s[66:67]
	global_load_dwordx2 v[53:54], v1, s[80:81]
	global_load_dwordx2 v[55:56], v1, s[52:53] offset:8
	s_waitcnt vmcnt(0)
	v_fma_f64 v[43:44], -v[43:44], v[55:56], v[53:54]
	global_store_dword v1, v1, s[26:27]
	global_store_dwordx2 v1, v[43:44], s[80:81]
	s_cbranch_vccnz .LBB2_48
; %bb.47:                               ;   in Loop: Header=BB2_41 Depth=3
	s_add_u32 s52, s24, s62
	s_addc_u32 s53, s25, s63
	v_mov_b32_e32 v2, v1
	global_store_dwordx2 v1, v[1:2], s[52:53]
.LBB2_48:                               ;   in Loop: Header=BB2_41 Depth=3
	s_mov_b64 s[52:53], 0
.LBB2_49:                               ;   in Loop: Header=BB2_41 Depth=3
	v_mov_b32_e32 v44, v32
	s_andn2_b64 vcc, exec, s[52:53]
	v_mov_b32_e32 v43, v31
	s_cbranch_vccnz .LBB2_53
; %bb.50:                               ;   in Loop: Header=BB2_41 Depth=3
	v_div_scale_f64 v[43:44], s[52:53], v[37:38], v[37:38], v[41:42]
	s_add_u32 s52, s24, s60
	global_store_dwordx2 v1, v[37:38], s[80:81] offset:-8
	s_addc_u32 s53, s25, s61
	v_div_scale_f64 v[59:60], vcc, v[41:42], v[37:38], v[41:42]
	s_nop 0
	global_load_dwordx2 v[55:56], v1, s[52:53] offset:8
	v_rcp_f64_e32 v[53:54], v[43:44]
	global_store_dword v1, v49, s[26:27]
	v_fma_f64 v[57:58], -v[43:44], v[53:54], 1.0
	v_fma_f64 v[53:54], v[53:54], v[57:58], v[53:54]
	v_fma_f64 v[57:58], -v[43:44], v[53:54], 1.0
	v_fma_f64 v[53:54], v[53:54], v[57:58], v[53:54]
	v_mul_f64 v[57:58], v[59:60], v[53:54]
	v_fma_f64 v[43:44], -v[43:44], v[57:58], v[59:60]
	v_div_fmas_f64 v[43:44], v[43:44], v[53:54], v[57:58]
	s_andn2_b64 vcc, exec, s[64:65]
	v_div_fixup_f64 v[37:38], v[43:44], v[37:38], v[41:42]
	s_waitcnt vmcnt(1)
	v_fma_f64 v[41:42], -v[35:36], v[37:38], v[55:56]
	global_store_dwordx2 v1, v[41:42], s[80:81]
	s_cbranch_vccnz .LBB2_52
; %bb.51:                               ;   in Loop: Header=BB2_41 Depth=3
	global_load_dwordx2 v[41:42], v1, s[52:53] offset:16
	s_add_u32 s80, s24, s62
	s_addc_u32 s81, s25, s63
	s_waitcnt vmcnt(0)
	v_mul_f64 v[43:44], v[41:42], -v[37:38]
	global_store_dwordx2 v1, v[41:42], s[80:81]
	global_store_dwordx2 v1, v[43:44], s[52:53] offset:16
.LBB2_52:                               ;   in Loop: Header=BB2_41 Depth=3
	v_mov_b32_e32 v44, v30
	v_mov_b32_e32 v43, v29
	global_store_dwordx2 v1, v[35:36], s[52:53] offset:8
	global_store_dwordx2 v1, v[37:38], s[66:67]
.LBB2_53:                               ;   in Loop: Header=BB2_41 Depth=3
	v_mov_b32_e32 v29, v43
	v_mov_b32_e32 v30, v44
	s_cbranch_execz .LBB2_56
	s_branch .LBB2_59
.LBB2_54:                               ;   in Loop: Header=BB2_41 Depth=3
	v_mov_b32_e32 v33, 0
	v_mov_b32_e32 v34, 0
	v_cmp_neq_f64_e32 vcc, 0, v[37:38]
	s_cbranch_vccnz .LBB2_45
.LBB2_55:                               ;   in Loop: Header=BB2_41 Depth=3
                                        ; implicit-def: $vgpr39_vgpr40
                                        ; implicit-def: $vgpr29_vgpr30
.LBB2_56:                               ;   in Loop: Header=BB2_41 Depth=3
	s_andn2_b64 vcc, exec, s[64:65]
	global_store_dword v1, v1, s[26:27]
	s_cbranch_vccnz .LBB2_58
; %bb.57:                               ;   in Loop: Header=BB2_41 Depth=3
	s_add_u32 s52, s24, s62
	s_addc_u32 s53, s25, s63
	v_mov_b32_e32 v2, v1
	global_store_dwordx2 v1, v[1:2], s[52:53]
.LBB2_58:                               ;   in Loop: Header=BB2_41 Depth=3
	v_mov_b32_e32 v39, 0
	v_mov_b32_e32 v29, v31
	;; [unrolled: 1-line block ×4, first 2 shown]
.LBB2_59:                               ;   in Loop: Header=BB2_41 Depth=3
	v_max_f64 v[31:32], v[39:40], v[39:40]
	v_max_f64 v[33:34], v[33:34], v[33:34]
	;; [unrolled: 1-line block ×3, first 2 shown]
	v_cmp_nle_f64_e32 vcc, v[31:32], v[9:10]
	s_cbranch_vccnz .LBB2_40
; %bb.60:                               ;   in Loop: Header=BB2_41 Depth=3
	global_load_dword v2, v1, s[34:35]
	s_waitcnt vmcnt(0)
	v_cmp_ne_u32_e32 vcc, 0, v2
	s_cbranch_vccnz .LBB2_40
; %bb.61:                               ;   in Loop: Header=BB2_41 Depth=3
	v_mov_b32_e32 v2, s20
	global_store_dword v1, v2, s[34:35]
	s_branch .LBB2_40
.LBB2_62:                               ;   in Loop: Header=BB2_22 Depth=2
	v_readlane_b32 s18, v61, 32
	v_readlane_b32 s19, v61, 33
	v_mul_f64 v[29:30], v[9:10], v[29:30]
	s_mov_b64 s[80:81], s[90:91]
	s_mov_b64 s[90:91], s[92:93]
	s_mov_b32 s92, s6
	s_mov_b32 s67, s7
	global_load_dwordx2 v[31:32], v1, s[18:19]
	s_mov_b32 s7, s44
	s_waitcnt vmcnt(0)
	v_cmp_le_f64_e64 s[18:19], |v[31:32]|, v[29:30]
	s_and_b64 vcc, exec, s[18:19]
	s_cbranch_vccz .LBB2_65
; %bb.63:                               ;   in Loop: Header=BB2_22 Depth=2
	global_load_dword v2, v1, s[34:35]
	s_waitcnt vmcnt(0)
	v_cmp_ne_u32_e32 vcc, 0, v2
	s_cbranch_vccnz .LBB2_65
; %bb.64:                               ;   in Loop: Header=BB2_22 Depth=2
	global_store_dword v1, v52, s[34:35]
.LBB2_65:                               ;   in Loop: Header=BB2_22 Depth=2
	s_or_b64 exec, exec, s[16:17]
	v_add_f64 v[27:28], v[25:26], -v[27:28]
	s_mov_b32 s51, 0
	s_mov_b32 s62, 0
	v_cmp_gt_f64_e64 s[74:75], |v[27:28]|, v[17:18]
.LBB2_66:                               ;   Parent Loop BB2_12 Depth=1
                                        ;     Parent Loop BB2_22 Depth=2
                                        ; =>    This Loop Header: Depth=3
                                        ;         Child Loop BB2_68 Depth 4
                                        ;         Child Loop BB2_105 Depth 4
                                        ;         Child Loop BB2_108 Depth 4
                                        ;         Child Loop BB2_111 Depth 4
                                        ;         Child Loop BB2_118 Depth 4
                                        ;           Child Loop BB2_124 Depth 5
                                        ;         Child Loop BB2_138 Depth 4
                                        ;           Child Loop BB2_139 Depth 5
                                        ;           Child Loop BB2_141 Depth 5
                                        ;         Child Loop BB2_146 Depth 4
	v_mov_b32_e32 v27, 0
	v_mov_b32_e32 v28, 0
	v_bfrev_b32_e32 v2, -2
	s_and_saveexec_b64 s[26:27], s[12:13]
	s_cbranch_execz .LBB2_70
; %bb.67:                               ;   in Loop: Header=BB2_66 Depth=3
	v_mov_b32_e32 v27, 0
	v_mov_b32_e32 v30, v4
	;; [unrolled: 1-line block ×3, first 2 shown]
	v_bfrev_b32_e32 v2, -2
	s_mov_b64 s[60:61], 0
	v_mov_b32_e32 v29, v3
	v_mov_b32_e32 v31, v0
.LBB2_68:                               ;   Parent Loop BB2_12 Depth=1
                                        ;     Parent Loop BB2_22 Depth=2
                                        ;       Parent Loop BB2_66 Depth=3
                                        ; =>      This Inner Loop Header: Depth=4
	global_load_dwordx2 v[32:33], v[29:30], off
	v_add_co_u32_e32 v29, vcc, 0x800, v29
	v_cmp_eq_u32_e64 s[16:17], s55, v2
	v_add_u32_e32 v34, 1, v31
	v_add_u32_e32 v31, 0x100, v31
	v_addc_co_u32_e32 v30, vcc, 0, v30, vcc
	v_cmp_ge_u32_e64 s[18:19], v31, v52
	s_waitcnt vmcnt(0)
	v_cmp_lt_f64_e64 s[52:53], v[27:28], |v[32:33]|
	v_and_b32_e32 v33, 0x7fffffff, v33
	s_or_b64 vcc, s[52:53], s[16:17]
	v_cndmask_b32_e32 v28, v28, v33, vcc
	v_cndmask_b32_e32 v27, v27, v32, vcc
	s_or_b64 s[60:61], s[18:19], s[60:61]
	v_cndmask_b32_e32 v2, v2, v34, vcc
	s_andn2_b64 exec, exec, s[60:61]
	s_cbranch_execnz .LBB2_68
; %bb.69:                               ;   in Loop: Header=BB2_66 Depth=3
	s_or_b64 exec, exec, s[60:61]
.LBB2_70:                               ;   in Loop: Header=BB2_66 Depth=3
	s_or_b64 exec, exec, s[26:27]
	ds_write_b64 v46, v[27:28]
	ds_write_b32 v47, v2 offset:4096
	s_waitcnt vmcnt(0) lgkmcnt(0)
	s_barrier
	s_and_saveexec_b64 s[18:19], s[2:3]
	s_cbranch_execz .LBB2_76
; %bb.71:                               ;   in Loop: Header=BB2_66 Depth=3
	ds_read_b64 v[29:30], v46 offset:1024
	ds_read_b32 v31, v47 offset:4608
	s_waitcnt lgkmcnt(1)
	v_cmp_lt_f64_e64 s[26:27], v[27:28], v[29:30]
	v_cmp_nlt_f64_e32 vcc, v[27:28], v[29:30]
	s_and_saveexec_b64 s[52:53], vcc
	s_cbranch_execz .LBB2_73
; %bb.72:                               ;   in Loop: Header=BB2_66 Depth=3
	v_cmp_eq_f64_e32 vcc, v[27:28], v[29:30]
	s_waitcnt lgkmcnt(0)
	v_cmp_gt_i32_e64 s[16:17], v2, v31
	s_andn2_b64 s[26:27], s[26:27], exec
	s_and_b64 s[16:17], vcc, s[16:17]
	s_and_b64 s[16:17], s[16:17], exec
	s_or_b64 s[26:27], s[26:27], s[16:17]
.LBB2_73:                               ;   in Loop: Header=BB2_66 Depth=3
	s_or_b64 exec, exec, s[52:53]
	s_and_saveexec_b64 s[16:17], s[26:27]
	s_cbranch_execz .LBB2_75
; %bb.74:                               ;   in Loop: Header=BB2_66 Depth=3
	v_mov_b32_e32 v27, v29
	s_waitcnt lgkmcnt(0)
	v_mov_b32_e32 v2, v31
	v_mov_b32_e32 v28, v30
	ds_write_b64 v46, v[29:30]
	ds_write_b32 v47, v31 offset:4096
.LBB2_75:                               ;   in Loop: Header=BB2_66 Depth=3
	s_or_b64 exec, exec, s[16:17]
.LBB2_76:                               ;   in Loop: Header=BB2_66 Depth=3
	s_or_b64 exec, exec, s[18:19]
	s_waitcnt lgkmcnt(0)
	s_barrier
	s_and_saveexec_b64 s[26:27], s[4:5]
	s_cbranch_execz .LBB2_103
; %bb.77:                               ;   in Loop: Header=BB2_66 Depth=3
	ds_read_b64 v[29:30], v46 offset:512
	ds_read_b32 v31, v47 offset:4352
	s_waitcnt lgkmcnt(1)
	v_cmp_lt_f64_e64 s[18:19], v[27:28], v[29:30]
	v_cmp_nlt_f64_e32 vcc, v[27:28], v[29:30]
	s_and_saveexec_b64 s[52:53], vcc
	s_cbranch_execz .LBB2_79
; %bb.78:                               ;   in Loop: Header=BB2_66 Depth=3
	v_cmp_eq_f64_e32 vcc, v[27:28], v[29:30]
	s_waitcnt lgkmcnt(0)
	v_cmp_gt_i32_e64 s[16:17], v2, v31
	s_andn2_b64 s[18:19], s[18:19], exec
	s_and_b64 s[16:17], vcc, s[16:17]
	s_and_b64 s[16:17], s[16:17], exec
	s_or_b64 s[18:19], s[18:19], s[16:17]
.LBB2_79:                               ;   in Loop: Header=BB2_66 Depth=3
	s_or_b64 exec, exec, s[52:53]
	s_and_saveexec_b64 s[16:17], s[18:19]
	s_cbranch_execz .LBB2_81
; %bb.80:                               ;   in Loop: Header=BB2_66 Depth=3
	v_mov_b32_e32 v27, v29
	v_mov_b32_e32 v28, v30
	s_waitcnt lgkmcnt(0)
	v_mov_b32_e32 v2, v31
	ds_write_b64 v46, v[29:30]
	ds_write_b32 v47, v31 offset:4096
.LBB2_81:                               ;   in Loop: Header=BB2_66 Depth=3
	s_or_b64 exec, exec, s[16:17]
	ds_read_b64 v[29:30], v46 offset:256
	s_waitcnt lgkmcnt(1)
	ds_read_b32 v31, v47 offset:4224
	s_waitcnt lgkmcnt(1)
	v_cmp_lt_f64_e64 s[18:19], v[27:28], v[29:30]
	v_cmp_nlt_f64_e32 vcc, v[27:28], v[29:30]
	s_and_saveexec_b64 s[52:53], vcc
	s_cbranch_execz .LBB2_83
; %bb.82:                               ;   in Loop: Header=BB2_66 Depth=3
	v_cmp_eq_f64_e32 vcc, v[27:28], v[29:30]
	s_waitcnt lgkmcnt(0)
	v_cmp_gt_i32_e64 s[16:17], v2, v31
	s_andn2_b64 s[18:19], s[18:19], exec
	s_and_b64 s[16:17], vcc, s[16:17]
	s_and_b64 s[16:17], s[16:17], exec
	s_or_b64 s[18:19], s[18:19], s[16:17]
.LBB2_83:                               ;   in Loop: Header=BB2_66 Depth=3
	s_or_b64 exec, exec, s[52:53]
	s_and_saveexec_b64 s[16:17], s[18:19]
	s_cbranch_execz .LBB2_85
; %bb.84:                               ;   in Loop: Header=BB2_66 Depth=3
	v_mov_b32_e32 v27, v29
	v_mov_b32_e32 v28, v30
	s_waitcnt lgkmcnt(0)
	v_mov_b32_e32 v2, v31
	ds_write_b64 v46, v[29:30]
	ds_write_b32 v47, v31 offset:4096
.LBB2_85:                               ;   in Loop: Header=BB2_66 Depth=3
	s_or_b64 exec, exec, s[16:17]
	ds_read_b64 v[29:30], v46 offset:128
	s_waitcnt lgkmcnt(1)
	ds_read_b32 v31, v47 offset:4160
	s_waitcnt lgkmcnt(1)
	v_cmp_lt_f64_e64 s[18:19], v[27:28], v[29:30]
	v_cmp_nlt_f64_e32 vcc, v[27:28], v[29:30]
	s_and_saveexec_b64 s[52:53], vcc
	s_cbranch_execz .LBB2_87
; %bb.86:                               ;   in Loop: Header=BB2_66 Depth=3
	v_cmp_eq_f64_e32 vcc, v[27:28], v[29:30]
	s_waitcnt lgkmcnt(0)
	v_cmp_gt_i32_e64 s[16:17], v2, v31
	s_andn2_b64 s[18:19], s[18:19], exec
	s_and_b64 s[16:17], vcc, s[16:17]
	s_and_b64 s[16:17], s[16:17], exec
	s_or_b64 s[18:19], s[18:19], s[16:17]
.LBB2_87:                               ;   in Loop: Header=BB2_66 Depth=3
	s_or_b64 exec, exec, s[52:53]
	s_and_saveexec_b64 s[16:17], s[18:19]
	s_cbranch_execz .LBB2_89
; %bb.88:                               ;   in Loop: Header=BB2_66 Depth=3
	v_mov_b32_e32 v27, v29
	v_mov_b32_e32 v28, v30
	s_waitcnt lgkmcnt(0)
	v_mov_b32_e32 v2, v31
	ds_write_b64 v46, v[29:30]
	ds_write_b32 v47, v31 offset:4096
.LBB2_89:                               ;   in Loop: Header=BB2_66 Depth=3
	s_or_b64 exec, exec, s[16:17]
	ds_read_b64 v[29:30], v46 offset:64
	s_waitcnt lgkmcnt(1)
	ds_read_b32 v31, v47 offset:4128
	s_waitcnt lgkmcnt(1)
	v_cmp_lt_f64_e64 s[18:19], v[27:28], v[29:30]
	v_cmp_nlt_f64_e32 vcc, v[27:28], v[29:30]
	s_and_saveexec_b64 s[52:53], vcc
	s_cbranch_execz .LBB2_91
; %bb.90:                               ;   in Loop: Header=BB2_66 Depth=3
	v_cmp_eq_f64_e32 vcc, v[27:28], v[29:30]
	s_waitcnt lgkmcnt(0)
	v_cmp_gt_i32_e64 s[16:17], v2, v31
	s_andn2_b64 s[18:19], s[18:19], exec
	s_and_b64 s[16:17], vcc, s[16:17]
	s_and_b64 s[16:17], s[16:17], exec
	s_or_b64 s[18:19], s[18:19], s[16:17]
.LBB2_91:                               ;   in Loop: Header=BB2_66 Depth=3
	s_or_b64 exec, exec, s[52:53]
	s_and_saveexec_b64 s[16:17], s[18:19]
	s_cbranch_execz .LBB2_93
; %bb.92:                               ;   in Loop: Header=BB2_66 Depth=3
	v_mov_b32_e32 v27, v29
	v_mov_b32_e32 v28, v30
	s_waitcnt lgkmcnt(0)
	v_mov_b32_e32 v2, v31
	ds_write_b64 v46, v[29:30]
	ds_write_b32 v47, v31 offset:4096
.LBB2_93:                               ;   in Loop: Header=BB2_66 Depth=3
	s_or_b64 exec, exec, s[16:17]
	ds_read_b64 v[29:30], v46 offset:32
	s_waitcnt lgkmcnt(1)
	ds_read_b32 v31, v47 offset:4112
	s_waitcnt lgkmcnt(1)
	v_cmp_lt_f64_e64 s[18:19], v[27:28], v[29:30]
	v_cmp_nlt_f64_e32 vcc, v[27:28], v[29:30]
	s_and_saveexec_b64 s[52:53], vcc
	s_cbranch_execz .LBB2_95
; %bb.94:                               ;   in Loop: Header=BB2_66 Depth=3
	v_cmp_eq_f64_e32 vcc, v[27:28], v[29:30]
	s_waitcnt lgkmcnt(0)
	v_cmp_gt_i32_e64 s[16:17], v2, v31
	s_andn2_b64 s[18:19], s[18:19], exec
	s_and_b64 s[16:17], vcc, s[16:17]
	s_and_b64 s[16:17], s[16:17], exec
	s_or_b64 s[18:19], s[18:19], s[16:17]
.LBB2_95:                               ;   in Loop: Header=BB2_66 Depth=3
	s_or_b64 exec, exec, s[52:53]
	s_and_saveexec_b64 s[16:17], s[18:19]
	s_cbranch_execz .LBB2_97
; %bb.96:                               ;   in Loop: Header=BB2_66 Depth=3
	v_mov_b32_e32 v27, v29
	v_mov_b32_e32 v28, v30
	s_waitcnt lgkmcnt(0)
	v_mov_b32_e32 v2, v31
	ds_write_b64 v46, v[29:30]
	ds_write_b32 v47, v31 offset:4096
.LBB2_97:                               ;   in Loop: Header=BB2_66 Depth=3
	s_or_b64 exec, exec, s[16:17]
	ds_read_b64 v[29:30], v46 offset:16
	s_waitcnt lgkmcnt(1)
	ds_read_b32 v31, v47 offset:4104
	s_waitcnt lgkmcnt(1)
	v_cmp_lt_f64_e64 s[18:19], v[27:28], v[29:30]
	v_cmp_nlt_f64_e32 vcc, v[27:28], v[29:30]
	s_and_saveexec_b64 s[52:53], vcc
	s_cbranch_execz .LBB2_99
; %bb.98:                               ;   in Loop: Header=BB2_66 Depth=3
	v_cmp_eq_f64_e32 vcc, v[27:28], v[29:30]
	s_waitcnt lgkmcnt(0)
	v_cmp_gt_i32_e64 s[16:17], v2, v31
	s_andn2_b64 s[18:19], s[18:19], exec
	s_and_b64 s[16:17], vcc, s[16:17]
	s_and_b64 s[16:17], s[16:17], exec
	s_or_b64 s[18:19], s[18:19], s[16:17]
.LBB2_99:                               ;   in Loop: Header=BB2_66 Depth=3
	s_or_b64 exec, exec, s[52:53]
	s_and_saveexec_b64 s[16:17], s[18:19]
	s_cbranch_execz .LBB2_101
; %bb.100:                              ;   in Loop: Header=BB2_66 Depth=3
	v_mov_b32_e32 v27, v29
	v_mov_b32_e32 v28, v30
	s_waitcnt lgkmcnt(0)
	v_mov_b32_e32 v2, v31
	ds_write_b64 v46, v[29:30]
	ds_write_b32 v47, v31 offset:4096
.LBB2_101:                              ;   in Loop: Header=BB2_66 Depth=3
	s_or_b64 exec, exec, s[16:17]
	ds_read_b64 v[29:30], v46 offset:8
	s_waitcnt lgkmcnt(0)
	v_cmp_eq_f64_e32 vcc, v[27:28], v[29:30]
	v_cmp_lt_f64_e64 s[16:17], v[27:28], v[29:30]
	ds_read_b32 v27, v47 offset:4100
	s_waitcnt lgkmcnt(0)
	v_cmp_gt_i32_e64 s[18:19], v2, v27
	s_and_b64 s[18:19], vcc, s[18:19]
	s_or_b64 s[16:17], s[16:17], s[18:19]
	s_and_b64 exec, exec, s[16:17]
	s_cbranch_execz .LBB2_103
; %bb.102:                              ;   in Loop: Header=BB2_66 Depth=3
	ds_write_b64 v46, v[29:30]
	ds_write_b32 v47, v27 offset:4096
.LBB2_103:                              ;   in Loop: Header=BB2_66 Depth=3
	s_or_b64 exec, exec, s[26:27]
	s_waitcnt lgkmcnt(0)
	s_barrier
	s_and_saveexec_b64 s[16:17], s[8:9]
	s_cbranch_execz .LBB2_106
; %bb.104:                              ;   in Loop: Header=BB2_66 Depth=3
	global_load_dwordx2 v[27:28], v1, s[94:95]
	v_mov_b32_e32 v2, s29
	v_mov_b32_e32 v30, s28
	s_waitcnt vmcnt(0)
	v_cmp_lt_f64_e64 vcc, s[28:29], |v[27:28]|
	v_and_b32_e32 v29, 0x7fffffff, v28
	v_cndmask_b32_e32 v28, v2, v29, vcc
	v_cndmask_b32_e32 v27, v30, v27, vcc
	v_mul_f64 v[27:28], v[19:20], v[27:28]
	ds_read_b64 v[29:30], v51
	v_mov_b32_e32 v2, v0
	s_waitcnt lgkmcnt(0)
	v_div_scale_f64 v[31:32], s[18:19], v[29:30], v[29:30], v[27:28]
	v_div_scale_f64 v[37:38], vcc, v[27:28], v[29:30], v[27:28]
	s_mov_b64 s[18:19], 0
	v_rcp_f64_e32 v[33:34], v[31:32]
	v_fma_f64 v[35:36], -v[31:32], v[33:34], 1.0
	v_fma_f64 v[33:34], v[33:34], v[35:36], v[33:34]
	v_fma_f64 v[35:36], -v[31:32], v[33:34], 1.0
	v_fma_f64 v[33:34], v[33:34], v[35:36], v[33:34]
	v_mul_f64 v[35:36], v[37:38], v[33:34]
	v_fma_f64 v[31:32], -v[31:32], v[35:36], v[37:38]
	v_div_fmas_f64 v[31:32], v[31:32], v[33:34], v[35:36]
	v_div_fixup_f64 v[27:28], v[31:32], v[29:30], v[27:28]
	v_mov_b32_e32 v30, v4
	v_mov_b32_e32 v29, v3
.LBB2_105:                              ;   Parent Loop BB2_12 Depth=1
                                        ;     Parent Loop BB2_22 Depth=2
                                        ;       Parent Loop BB2_66 Depth=3
                                        ; =>      This Inner Loop Header: Depth=4
	global_load_dwordx2 v[31:32], v[29:30], off
	v_add_u32_e32 v2, 0x100, v2
	v_cmp_lt_i32_e32 vcc, s88, v2
	s_or_b64 s[18:19], vcc, s[18:19]
	s_waitcnt vmcnt(0)
	v_mul_f64 v[31:32], v[27:28], v[31:32]
	global_store_dwordx2 v[29:30], v[31:32], off
	v_add_co_u32_e32 v29, vcc, 0x800, v29
	v_addc_co_u32_e32 v30, vcc, 0, v30, vcc
	s_andn2_b64 exec, exec, s[18:19]
	s_cbranch_execnz .LBB2_105
.LBB2_106:                              ;   in Loop: Header=BB2_66 Depth=3
	s_or_b64 exec, exec, s[16:17]
	s_waitcnt vmcnt(0)
	s_barrier
	s_and_saveexec_b64 s[18:19], s[0:1]
	s_cbranch_execz .LBB2_134
; %bb.107:                              ;   in Loop: Header=BB2_66 Depth=3
	global_load_dwordx4 v[27:30], v1, s[40:41]
	global_load_dwordx2 v[31:32], v1, s[42:43] offset:8
	s_andn2_b64 vcc, exec, s[14:15]
	s_mov_b64 s[16:17], s[48:49]
	s_mov_b64 s[26:27], s[68:69]
	s_mov_b32 s20, s83
	s_waitcnt vmcnt(1)
	v_max_f64 v[29:30], |v[29:30]|, |v[29:30]|
	s_waitcnt vmcnt(0)
	v_max_f64 v[31:32], |v[31:32]|, |v[31:32]|
	v_max_f64 v[27:28], |v[27:28]|, |v[27:28]|
	v_max_f64 v[29:30], v[29:30], v[31:32]
	v_max_f64 v[27:28], v[27:28], v[29:30]
	s_cbranch_vccnz .LBB2_109
.LBB2_108:                              ;   Parent Loop BB2_12 Depth=1
                                        ;     Parent Loop BB2_22 Depth=2
                                        ;       Parent Loop BB2_66 Depth=3
                                        ; =>      This Inner Loop Header: Depth=4
	s_add_u32 s52, s26, s73
	s_addc_u32 s53, s27, s58
	global_load_dwordx2 v[29:30], v1, s[26:27]
	global_load_dwordx2 v[31:32], v1, s[16:17]
	;; [unrolled: 1-line block ×3, first 2 shown]
	v_max_f64 v[27:28], v[27:28], v[27:28]
	s_add_i32 s20, s20, -1
	s_add_u32 s26, s26, 8
	s_addc_u32 s27, s27, 0
	s_add_u32 s16, s16, 8
	s_addc_u32 s17, s17, 0
	s_cmp_lg_u32 s20, 0
	s_waitcnt vmcnt(2)
	v_max_f64 v[29:30], |v[29:30]|, |v[29:30]|
	s_waitcnt vmcnt(1)
	v_max_f64 v[31:32], |v[31:32]|, |v[31:32]|
	;; [unrolled: 2-line block ×3, first 2 shown]
	v_max_f64 v[27:28], v[27:28], v[29:30]
	v_max_f64 v[29:30], v[33:34], v[31:32]
	;; [unrolled: 1-line block ×3, first 2 shown]
	s_cbranch_scc1 .LBB2_108
.LBB2_109:                              ;   in Loop: Header=BB2_66 Depth=3
	s_mov_b32 s20, s88
	s_mov_b64 s[16:17], s[78:79]
	s_mov_b64 s[26:27], s[46:47]
	;; [unrolled: 1-line block ×3, first 2 shown]
	s_branch .LBB2_111
.LBB2_110:                              ;   in Loop: Header=BB2_111 Depth=4
	s_add_u32 s60, s60, 8
	s_addc_u32 s61, s61, 0
	s_add_u32 s26, s26, 8
	s_addc_u32 s27, s27, 0
	;; [unrolled: 2-line block ×3, first 2 shown]
	s_add_i32 s20, s20, -1
	s_cmp_lg_u32 s20, 0
	s_cbranch_scc0 .LBB2_115
.LBB2_111:                              ;   Parent Loop BB2_12 Depth=1
                                        ;     Parent Loop BB2_22 Depth=2
                                        ;       Parent Loop BB2_66 Depth=3
                                        ; =>      This Inner Loop Header: Depth=4
	global_load_dword v2, v1, s[16:17]
	s_waitcnt vmcnt(0)
	v_cmp_ne_u32_e32 vcc, 0, v2
	s_cbranch_vccz .LBB2_113
; %bb.112:                              ;   in Loop: Header=BB2_111 Depth=4
	global_load_dwordx4 v[29:32], v1, s[60:61] offset:-8
	s_waitcnt vmcnt(0)
	global_store_dwordx2 v1, v[31:32], s[60:61] offset:-8
	global_load_dwordx2 v[33:34], v1, s[26:27]
	s_waitcnt vmcnt(0)
	v_fma_f64 v[29:30], -v[31:32], v[33:34], v[29:30]
	global_store_dwordx2 v1, v[29:30], s[60:61]
	s_cbranch_execnz .LBB2_110
	s_branch .LBB2_114
.LBB2_113:                              ;   in Loop: Header=BB2_111 Depth=4
.LBB2_114:                              ;   in Loop: Header=BB2_111 Depth=4
	global_load_dwordx4 v[29:32], v1, s[60:61] offset:-8
	global_load_dwordx2 v[33:34], v1, s[26:27]
	s_waitcnt vmcnt(0)
	v_fma_f64 v[29:30], -v[33:34], v[29:30], v[31:32]
	global_store_dwordx2 v1, v[29:30], s[60:61]
	s_branch .LBB2_110
.LBB2_115:                              ;   in Loop: Header=BB2_66 Depth=3
	v_mul_f64 v[27:28], s[28:29], v[27:28]
	v_cmp_eq_f64_e32 vcc, 0, v[27:28]
	v_readfirstlane_b32 s20, v28
	v_readfirstlane_b32 s26, v27
	s_and_b64 s[16:17], vcc, exec
	s_cselect_b32 s63, s29, s20
	s_cselect_b32 s64, s28, s26
	s_and_b32 s65, s63, 0x7fffffff
	s_mov_b32 s66, s64
	s_mov_b32 s20, s88
	s_branch .LBB2_118
.LBB2_116:                              ;   in Loop: Header=BB2_118 Depth=4
	v_mov_b32_e32 v29, v37
	v_mov_b32_e32 v30, v38
.LBB2_117:                              ;   in Loop: Header=BB2_118 Depth=4
	v_div_scale_f64 v[31:32], s[16:17], v[29:30], v[29:30], v[27:28]
	s_add_i32 s16, s20, -1
	s_cmp_gt_i32 s20, 0
	s_mov_b32 s20, s16
	v_rcp_f64_e32 v[33:34], v[31:32]
	v_fma_f64 v[35:36], -v[31:32], v[33:34], 1.0
	v_fma_f64 v[33:34], v[33:34], v[35:36], v[33:34]
	v_div_scale_f64 v[35:36], vcc, v[27:28], v[29:30], v[27:28]
	v_fma_f64 v[37:38], -v[31:32], v[33:34], 1.0
	v_fma_f64 v[33:34], v[33:34], v[37:38], v[33:34]
	v_mul_f64 v[37:38], v[35:36], v[33:34]
	v_fma_f64 v[31:32], -v[31:32], v[37:38], v[35:36]
	v_div_fmas_f64 v[31:32], v[31:32], v[33:34], v[37:38]
	v_div_fixup_f64 v[27:28], v[31:32], v[29:30], v[27:28]
	global_store_dwordx2 v1, v[27:28], s[26:27]
	s_cbranch_scc0 .LBB2_134
.LBB2_118:                              ;   Parent Loop BB2_12 Depth=1
                                        ;     Parent Loop BB2_22 Depth=2
                                        ;       Parent Loop BB2_66 Depth=3
                                        ; =>      This Loop Header: Depth=4
                                        ;           Child Loop BB2_124 Depth 5
	s_lshl_b64 s[16:17], s[20:21], 3
	s_add_u32 s26, s36, s16
	s_addc_u32 s27, s37, s17
	global_load_dwordx2 v[27:28], v1, s[26:27]
	s_cmp_ge_i32 s20, s88
	s_cbranch_scc1 .LBB2_120
; %bb.119:                              ;   in Loop: Header=BB2_118 Depth=4
	s_add_u32 s52, s42, s16
	s_addc_u32 s53, s43, s17
	global_load_dwordx2 v[29:30], v1, s[52:53] offset:8
	global_load_dwordx2 v[31:32], v1, s[26:27] offset:8
	s_waitcnt vmcnt(0)
	v_fma_f64 v[27:28], -v[29:30], v[31:32], v[27:28]
.LBB2_120:                              ;   in Loop: Header=BB2_118 Depth=4
	s_cmp_ge_i32 s20, s83
	s_cbranch_scc1 .LBB2_122
; %bb.121:                              ;   in Loop: Header=BB2_118 Depth=4
	s_add_u32 s52, s48, s16
	s_addc_u32 s53, s49, s17
	global_load_dwordx2 v[29:30], v1, s[52:53]
	global_load_dwordx2 v[31:32], v1, s[26:27] offset:16
	s_waitcnt vmcnt(0)
	v_fma_f64 v[27:28], -v[29:30], v[31:32], v[27:28]
.LBB2_122:                              ;   in Loop: Header=BB2_118 Depth=4
	s_add_u32 s16, s40, s16
	s_addc_u32 s17, s41, s17
	global_load_dwordx2 v[29:30], v1, s[16:17]
	s_waitcnt vmcnt(0)
	v_cmp_nlt_f64_e64 s[16:17], |v[29:30]|, 1.0
	s_and_b64 vcc, exec, s[16:17]
	s_cbranch_vccnz .LBB2_117
; %bb.123:                              ;   in Loop: Header=BB2_118 Depth=4
	v_cmp_nle_f64_e32 vcc, 0, v[29:30]
	v_mul_f64 v[31:32], s[30:31], |v[27:28]|
	s_xor_b32 s52, s65, 0x80000000
	s_and_b32 s53, s63, 0x7fffffff
	v_and_b32_e32 v36, 0x7fffffff, v30
	v_mov_b32_e32 v35, v29
	s_and_b64 s[16:17], vcc, exec
	s_cselect_b32 s17, s52, s53
	s_cselect_b32 s16, s66, s64
	v_mov_b32_e32 v34, s17
	v_mov_b32_e32 v33, s16
.LBB2_124:                              ;   Parent Loop BB2_12 Depth=1
                                        ;     Parent Loop BB2_22 Depth=2
                                        ;       Parent Loop BB2_66 Depth=3
                                        ;         Parent Loop BB2_118 Depth=4
                                        ; =>        This Inner Loop Header: Depth=5
	v_cmp_ngt_f64_e32 vcc, s[30:31], v[35:36]
	s_mov_b64 s[16:17], -1
	s_mov_b64 s[52:53], 0
	s_mov_b64 s[60:61], -1
	s_cbranch_vccnz .LBB2_128
; %bb.125:                              ;   in Loop: Header=BB2_124 Depth=5
	s_andn2_b64 vcc, exec, s[60:61]
	s_cbranch_vccz .LBB2_129
.LBB2_126:                              ;   in Loop: Header=BB2_124 Depth=5
	s_andn2_b64 vcc, exec, s[52:53]
	s_cbranch_vccnz .LBB2_130
.LBB2_127:                              ;   in Loop: Header=BB2_124 Depth=5
	v_add_f64 v[37:38], v[29:30], v[33:34]
	v_add_f64 v[33:34], v[33:34], v[33:34]
	s_mov_b64 s[16:17], -1
	v_cmp_nlt_f64_e64 s[52:53], |v[37:38]|, 1.0
	v_and_b32_e32 v36, 0x7fffffff, v38
	v_mov_b32_e32 v35, v37
	s_andn2_b64 vcc, exec, s[52:53]
	s_cbranch_vccnz .LBB2_131
	s_branch .LBB2_132
.LBB2_128:                              ;   in Loop: Header=BB2_124 Depth=5
	v_mul_f64 v[37:38], v[11:12], v[35:36]
	v_cmp_gt_f64_e64 s[52:53], |v[27:28]|, v[37:38]
	s_cbranch_execnz .LBB2_126
.LBB2_129:                              ;   in Loop: Header=BB2_124 Depth=5
	v_cmp_eq_f64_e32 vcc, 0, v[29:30]
	v_cmp_gt_f64_e64 s[16:17], v[31:32], v[35:36]
	s_or_b64 s[52:53], vcc, s[16:17]
	s_mov_b64 s[16:17], 0
	s_andn2_b64 vcc, exec, s[52:53]
	s_cbranch_vccz .LBB2_127
.LBB2_130:                              ;   in Loop: Header=BB2_118 Depth=4
	v_mov_b32_e32 v38, v30
                                        ; implicit-def: $vgpr33_vgpr34
                                        ; implicit-def: $vgpr35_vgpr36
	v_mov_b32_e32 v37, v29
	s_branch .LBB2_132
.LBB2_131:                              ;   in Loop: Header=BB2_124 Depth=5
	v_mov_b32_e32 v29, v37
	v_mov_b32_e32 v30, v38
	s_branch .LBB2_124
.LBB2_132:                              ;   in Loop: Header=BB2_118 Depth=4
	s_andn2_b64 vcc, exec, s[16:17]
	s_cbranch_vccz .LBB2_116
; %bb.133:                              ;   in Loop: Header=BB2_118 Depth=4
	v_mul_f64 v[27:28], v[11:12], v[27:28]
	v_mul_f64 v[37:38], v[11:12], v[29:30]
	s_branch .LBB2_116
.LBB2_134:                              ;   in Loop: Header=BB2_66 Depth=3
	s_or_b64 exec, exec, s[18:19]
	s_andn2_b64 vcc, exec, s[38:39]
	s_waitcnt vmcnt(0)
	s_barrier
	s_cbranch_vccnz .LBB2_144
; %bb.135:                              ;   in Loop: Header=BB2_66 Depth=3
	s_and_b64 s[16:17], s[74:75], exec
	s_cselect_b32 s20, s50, s85
	s_cmp_eq_u32 s20, s50
	s_mov_b32 s85, s50
	s_cbranch_scc1 .LBB2_144
; %bb.136:                              ;   in Loop: Header=BB2_66 Depth=3
	s_cmp_lt_i32 s20, s50
	s_cselect_b64 s[16:17], -1, 0
	s_and_b64 s[18:19], s[0:1], s[16:17]
	s_and_saveexec_b64 s[16:17], s[18:19]
	s_cbranch_execz .LBB2_143
; %bb.137:                              ;   in Loop: Header=BB2_66 Depth=3
	s_mul_i32 s18, s57, s20
	s_add_i32 s52, s84, s18
	s_mov_b32 s53, s20
.LBB2_138:                              ;   Parent Loop BB2_12 Depth=1
                                        ;     Parent Loop BB2_22 Depth=2
                                        ;       Parent Loop BB2_66 Depth=3
                                        ; =>      This Loop Header: Depth=4
                                        ;           Child Loop BB2_139 Depth 5
                                        ;           Child Loop BB2_141 Depth 5
	v_mov_b32_e32 v27, 0
	v_mov_b32_e32 v28, 0
	s_mov_b64 s[18:19], s[36:37]
	s_mov_b32 s26, s52
	s_mov_b32 s60, s87
.LBB2_139:                              ;   Parent Loop BB2_12 Depth=1
                                        ;     Parent Loop BB2_22 Depth=2
                                        ;       Parent Loop BB2_66 Depth=3
                                        ;         Parent Loop BB2_138 Depth=4
                                        ; =>        This Inner Loop Header: Depth=5
	s_ashr_i32 s27, s26, 31
	s_lshl_b64 s[64:65], s[26:27], 3
	s_add_u32 s64, s56, s64
	s_addc_u32 s65, s72, s65
	global_load_dwordx2 v[29:30], v1, s[18:19]
	global_load_dwordx2 v[31:32], v1, s[64:65]
	s_add_i32 s60, s60, -1
	s_add_i32 s26, s26, 1
	s_add_u32 s18, s18, 8
	s_addc_u32 s19, s19, 0
	s_cmp_lg_u32 s60, 0
	s_waitcnt vmcnt(0)
	v_fma_f64 v[27:28], v[29:30], v[31:32], v[27:28]
	s_cbranch_scc1 .LBB2_139
; %bb.140:                              ;   in Loop: Header=BB2_138 Depth=4
	s_mov_b32 s26, 0
	s_mov_b64 s[18:19], s[36:37]
.LBB2_141:                              ;   Parent Loop BB2_12 Depth=1
                                        ;     Parent Loop BB2_22 Depth=2
                                        ;       Parent Loop BB2_66 Depth=3
                                        ;         Parent Loop BB2_138 Depth=4
                                        ; =>        This Inner Loop Header: Depth=5
	s_add_i32 s60, s52, s26
	s_ashr_i32 s61, s60, 31
	s_lshl_b64 s[60:61], s[60:61], 3
	s_add_u32 s60, s56, s60
	s_addc_u32 s61, s72, s61
	global_load_dwordx2 v[29:30], v1, s[18:19]
	global_load_dwordx2 v[31:32], v1, s[60:61]
	s_add_i32 s26, s26, 1
	s_waitcnt vmcnt(0)
	v_fma_f64 v[29:30], -v[27:28], v[31:32], v[29:30]
	global_store_dwordx2 v1, v[29:30], s[18:19]
	s_add_u32 s18, s18, 8
	s_addc_u32 s19, s19, 0
	s_cmp_lg_u32 s87, s26
	s_cbranch_scc1 .LBB2_141
; %bb.142:                              ;   in Loop: Header=BB2_138 Depth=4
	s_add_i32 s53, s53, 1
	s_add_i32 s52, s52, s57
	s_cmp_lt_i32 s53, s50
	s_cbranch_scc1 .LBB2_138
.LBB2_143:                              ;   in Loop: Header=BB2_66 Depth=3
	s_or_b64 exec, exec, s[16:17]
	s_mov_b32 s85, s20
	s_waitcnt vmcnt(0)
	s_barrier
.LBB2_144:                              ;   in Loop: Header=BB2_66 Depth=3
	v_mov_b32_e32 v27, 0
	v_mov_b32_e32 v28, 0
	v_bfrev_b32_e32 v2, -2
	s_and_saveexec_b64 s[26:27], s[12:13]
	s_cbranch_execz .LBB2_148
; %bb.145:                              ;   in Loop: Header=BB2_66 Depth=3
	v_mov_b32_e32 v27, 0
	v_mov_b32_e32 v30, v4
	;; [unrolled: 1-line block ×3, first 2 shown]
	v_bfrev_b32_e32 v2, -2
	s_mov_b64 s[60:61], 0
	v_mov_b32_e32 v29, v3
	v_mov_b32_e32 v31, v0
.LBB2_146:                              ;   Parent Loop BB2_12 Depth=1
                                        ;     Parent Loop BB2_22 Depth=2
                                        ;       Parent Loop BB2_66 Depth=3
                                        ; =>      This Inner Loop Header: Depth=4
	global_load_dwordx2 v[32:33], v[29:30], off
	v_add_co_u32_e32 v29, vcc, 0x800, v29
	v_cmp_eq_u32_e64 s[16:17], s55, v2
	v_add_u32_e32 v34, 1, v31
	v_add_u32_e32 v31, 0x100, v31
	v_addc_co_u32_e32 v30, vcc, 0, v30, vcc
	v_cmp_ge_u32_e64 s[18:19], v31, v52
	s_waitcnt vmcnt(0)
	v_cmp_lt_f64_e64 s[52:53], v[27:28], |v[32:33]|
	v_and_b32_e32 v33, 0x7fffffff, v33
	s_or_b64 vcc, s[52:53], s[16:17]
	v_cndmask_b32_e32 v28, v28, v33, vcc
	v_cndmask_b32_e32 v27, v27, v32, vcc
	s_or_b64 s[60:61], s[18:19], s[60:61]
	v_cndmask_b32_e32 v2, v2, v34, vcc
	s_andn2_b64 exec, exec, s[60:61]
	s_cbranch_execnz .LBB2_146
; %bb.147:                              ;   in Loop: Header=BB2_66 Depth=3
	s_or_b64 exec, exec, s[60:61]
.LBB2_148:                              ;   in Loop: Header=BB2_66 Depth=3
	s_or_b64 exec, exec, s[26:27]
	ds_write_b64 v46, v[27:28]
	ds_write_b32 v47, v2 offset:4096
	s_waitcnt lgkmcnt(0)
	s_barrier
	s_and_saveexec_b64 s[18:19], s[2:3]
	s_cbranch_execz .LBB2_154
; %bb.149:                              ;   in Loop: Header=BB2_66 Depth=3
	ds_read_b64 v[29:30], v46 offset:1024
	ds_read_b32 v31, v47 offset:4608
	s_waitcnt lgkmcnt(1)
	v_cmp_lt_f64_e64 s[26:27], v[27:28], v[29:30]
	v_cmp_nlt_f64_e32 vcc, v[27:28], v[29:30]
	s_and_saveexec_b64 s[52:53], vcc
	s_cbranch_execz .LBB2_151
; %bb.150:                              ;   in Loop: Header=BB2_66 Depth=3
	v_cmp_eq_f64_e32 vcc, v[27:28], v[29:30]
	s_waitcnt lgkmcnt(0)
	v_cmp_gt_i32_e64 s[16:17], v2, v31
	s_andn2_b64 s[26:27], s[26:27], exec
	s_and_b64 s[16:17], vcc, s[16:17]
	s_and_b64 s[16:17], s[16:17], exec
	s_or_b64 s[26:27], s[26:27], s[16:17]
.LBB2_151:                              ;   in Loop: Header=BB2_66 Depth=3
	s_or_b64 exec, exec, s[52:53]
	s_and_saveexec_b64 s[16:17], s[26:27]
	s_cbranch_execz .LBB2_153
; %bb.152:                              ;   in Loop: Header=BB2_66 Depth=3
	v_mov_b32_e32 v27, v29
	s_waitcnt lgkmcnt(0)
	v_mov_b32_e32 v2, v31
	v_mov_b32_e32 v28, v30
	ds_write_b64 v46, v[29:30]
	ds_write_b32 v47, v31 offset:4096
.LBB2_153:                              ;   in Loop: Header=BB2_66 Depth=3
	s_or_b64 exec, exec, s[16:17]
.LBB2_154:                              ;   in Loop: Header=BB2_66 Depth=3
	s_or_b64 exec, exec, s[18:19]
	s_waitcnt lgkmcnt(0)
	s_barrier
	s_and_saveexec_b64 s[26:27], s[4:5]
	s_cbranch_execz .LBB2_181
; %bb.155:                              ;   in Loop: Header=BB2_66 Depth=3
	ds_read_b64 v[29:30], v46 offset:512
	ds_read_b32 v31, v47 offset:4352
	s_waitcnt lgkmcnt(1)
	v_cmp_lt_f64_e64 s[18:19], v[27:28], v[29:30]
	v_cmp_nlt_f64_e32 vcc, v[27:28], v[29:30]
	s_and_saveexec_b64 s[52:53], vcc
	s_cbranch_execz .LBB2_157
; %bb.156:                              ;   in Loop: Header=BB2_66 Depth=3
	v_cmp_eq_f64_e32 vcc, v[27:28], v[29:30]
	s_waitcnt lgkmcnt(0)
	v_cmp_gt_i32_e64 s[16:17], v2, v31
	s_andn2_b64 s[18:19], s[18:19], exec
	s_and_b64 s[16:17], vcc, s[16:17]
	s_and_b64 s[16:17], s[16:17], exec
	s_or_b64 s[18:19], s[18:19], s[16:17]
.LBB2_157:                              ;   in Loop: Header=BB2_66 Depth=3
	s_or_b64 exec, exec, s[52:53]
	s_and_saveexec_b64 s[16:17], s[18:19]
	s_cbranch_execz .LBB2_159
; %bb.158:                              ;   in Loop: Header=BB2_66 Depth=3
	v_mov_b32_e32 v27, v29
	v_mov_b32_e32 v28, v30
	s_waitcnt lgkmcnt(0)
	v_mov_b32_e32 v2, v31
	ds_write_b64 v46, v[29:30]
	ds_write_b32 v47, v31 offset:4096
.LBB2_159:                              ;   in Loop: Header=BB2_66 Depth=3
	s_or_b64 exec, exec, s[16:17]
	ds_read_b64 v[29:30], v46 offset:256
	s_waitcnt lgkmcnt(1)
	ds_read_b32 v31, v47 offset:4224
	s_waitcnt lgkmcnt(1)
	v_cmp_lt_f64_e64 s[18:19], v[27:28], v[29:30]
	v_cmp_nlt_f64_e32 vcc, v[27:28], v[29:30]
	s_and_saveexec_b64 s[52:53], vcc
	s_cbranch_execz .LBB2_161
; %bb.160:                              ;   in Loop: Header=BB2_66 Depth=3
	v_cmp_eq_f64_e32 vcc, v[27:28], v[29:30]
	s_waitcnt lgkmcnt(0)
	v_cmp_gt_i32_e64 s[16:17], v2, v31
	s_andn2_b64 s[18:19], s[18:19], exec
	s_and_b64 s[16:17], vcc, s[16:17]
	s_and_b64 s[16:17], s[16:17], exec
	s_or_b64 s[18:19], s[18:19], s[16:17]
.LBB2_161:                              ;   in Loop: Header=BB2_66 Depth=3
	s_or_b64 exec, exec, s[52:53]
	s_and_saveexec_b64 s[16:17], s[18:19]
	s_cbranch_execz .LBB2_163
; %bb.162:                              ;   in Loop: Header=BB2_66 Depth=3
	v_mov_b32_e32 v27, v29
	v_mov_b32_e32 v28, v30
	s_waitcnt lgkmcnt(0)
	v_mov_b32_e32 v2, v31
	ds_write_b64 v46, v[29:30]
	ds_write_b32 v47, v31 offset:4096
.LBB2_163:                              ;   in Loop: Header=BB2_66 Depth=3
	s_or_b64 exec, exec, s[16:17]
	ds_read_b64 v[29:30], v46 offset:128
	s_waitcnt lgkmcnt(1)
	ds_read_b32 v31, v47 offset:4160
	s_waitcnt lgkmcnt(1)
	v_cmp_lt_f64_e64 s[18:19], v[27:28], v[29:30]
	v_cmp_nlt_f64_e32 vcc, v[27:28], v[29:30]
	s_and_saveexec_b64 s[52:53], vcc
	s_cbranch_execz .LBB2_165
; %bb.164:                              ;   in Loop: Header=BB2_66 Depth=3
	v_cmp_eq_f64_e32 vcc, v[27:28], v[29:30]
	s_waitcnt lgkmcnt(0)
	v_cmp_gt_i32_e64 s[16:17], v2, v31
	s_andn2_b64 s[18:19], s[18:19], exec
	s_and_b64 s[16:17], vcc, s[16:17]
	s_and_b64 s[16:17], s[16:17], exec
	s_or_b64 s[18:19], s[18:19], s[16:17]
.LBB2_165:                              ;   in Loop: Header=BB2_66 Depth=3
	s_or_b64 exec, exec, s[52:53]
	s_and_saveexec_b64 s[16:17], s[18:19]
	s_cbranch_execz .LBB2_167
; %bb.166:                              ;   in Loop: Header=BB2_66 Depth=3
	v_mov_b32_e32 v27, v29
	v_mov_b32_e32 v28, v30
	s_waitcnt lgkmcnt(0)
	v_mov_b32_e32 v2, v31
	ds_write_b64 v46, v[29:30]
	ds_write_b32 v47, v31 offset:4096
.LBB2_167:                              ;   in Loop: Header=BB2_66 Depth=3
	s_or_b64 exec, exec, s[16:17]
	ds_read_b64 v[29:30], v46 offset:64
	s_waitcnt lgkmcnt(1)
	ds_read_b32 v31, v47 offset:4128
	s_waitcnt lgkmcnt(1)
	v_cmp_lt_f64_e64 s[18:19], v[27:28], v[29:30]
	v_cmp_nlt_f64_e32 vcc, v[27:28], v[29:30]
	s_and_saveexec_b64 s[52:53], vcc
	s_cbranch_execz .LBB2_169
; %bb.168:                              ;   in Loop: Header=BB2_66 Depth=3
	v_cmp_eq_f64_e32 vcc, v[27:28], v[29:30]
	s_waitcnt lgkmcnt(0)
	v_cmp_gt_i32_e64 s[16:17], v2, v31
	s_andn2_b64 s[18:19], s[18:19], exec
	s_and_b64 s[16:17], vcc, s[16:17]
	s_and_b64 s[16:17], s[16:17], exec
	s_or_b64 s[18:19], s[18:19], s[16:17]
.LBB2_169:                              ;   in Loop: Header=BB2_66 Depth=3
	s_or_b64 exec, exec, s[52:53]
	s_and_saveexec_b64 s[16:17], s[18:19]
	s_cbranch_execz .LBB2_171
; %bb.170:                              ;   in Loop: Header=BB2_66 Depth=3
	v_mov_b32_e32 v27, v29
	v_mov_b32_e32 v28, v30
	s_waitcnt lgkmcnt(0)
	v_mov_b32_e32 v2, v31
	ds_write_b64 v46, v[29:30]
	ds_write_b32 v47, v31 offset:4096
.LBB2_171:                              ;   in Loop: Header=BB2_66 Depth=3
	s_or_b64 exec, exec, s[16:17]
	ds_read_b64 v[29:30], v46 offset:32
	s_waitcnt lgkmcnt(1)
	ds_read_b32 v31, v47 offset:4112
	s_waitcnt lgkmcnt(1)
	v_cmp_lt_f64_e64 s[18:19], v[27:28], v[29:30]
	v_cmp_nlt_f64_e32 vcc, v[27:28], v[29:30]
	s_and_saveexec_b64 s[52:53], vcc
	s_cbranch_execz .LBB2_173
; %bb.172:                              ;   in Loop: Header=BB2_66 Depth=3
	v_cmp_eq_f64_e32 vcc, v[27:28], v[29:30]
	s_waitcnt lgkmcnt(0)
	v_cmp_gt_i32_e64 s[16:17], v2, v31
	s_andn2_b64 s[18:19], s[18:19], exec
	s_and_b64 s[16:17], vcc, s[16:17]
	s_and_b64 s[16:17], s[16:17], exec
	s_or_b64 s[18:19], s[18:19], s[16:17]
.LBB2_173:                              ;   in Loop: Header=BB2_66 Depth=3
	s_or_b64 exec, exec, s[52:53]
	s_and_saveexec_b64 s[16:17], s[18:19]
	s_cbranch_execz .LBB2_175
; %bb.174:                              ;   in Loop: Header=BB2_66 Depth=3
	v_mov_b32_e32 v27, v29
	v_mov_b32_e32 v28, v30
	s_waitcnt lgkmcnt(0)
	v_mov_b32_e32 v2, v31
	ds_write_b64 v46, v[29:30]
	ds_write_b32 v47, v31 offset:4096
.LBB2_175:                              ;   in Loop: Header=BB2_66 Depth=3
	s_or_b64 exec, exec, s[16:17]
	ds_read_b64 v[29:30], v46 offset:16
	s_waitcnt lgkmcnt(1)
	ds_read_b32 v31, v47 offset:4104
	s_waitcnt lgkmcnt(1)
	v_cmp_lt_f64_e64 s[18:19], v[27:28], v[29:30]
	v_cmp_nlt_f64_e32 vcc, v[27:28], v[29:30]
	s_and_saveexec_b64 s[52:53], vcc
	s_cbranch_execz .LBB2_177
; %bb.176:                              ;   in Loop: Header=BB2_66 Depth=3
	v_cmp_eq_f64_e32 vcc, v[27:28], v[29:30]
	s_waitcnt lgkmcnt(0)
	v_cmp_gt_i32_e64 s[16:17], v2, v31
	s_andn2_b64 s[18:19], s[18:19], exec
	s_and_b64 s[16:17], vcc, s[16:17]
	s_and_b64 s[16:17], s[16:17], exec
	s_or_b64 s[18:19], s[18:19], s[16:17]
.LBB2_177:                              ;   in Loop: Header=BB2_66 Depth=3
	s_or_b64 exec, exec, s[52:53]
	s_and_saveexec_b64 s[16:17], s[18:19]
	s_cbranch_execz .LBB2_179
; %bb.178:                              ;   in Loop: Header=BB2_66 Depth=3
	v_mov_b32_e32 v27, v29
	v_mov_b32_e32 v28, v30
	s_waitcnt lgkmcnt(0)
	v_mov_b32_e32 v2, v31
	ds_write_b64 v46, v[29:30]
	ds_write_b32 v47, v31 offset:4096
.LBB2_179:                              ;   in Loop: Header=BB2_66 Depth=3
	s_or_b64 exec, exec, s[16:17]
	ds_read_b64 v[29:30], v46 offset:8
	s_waitcnt lgkmcnt(0)
	v_cmp_eq_f64_e32 vcc, v[27:28], v[29:30]
	v_cmp_lt_f64_e64 s[16:17], v[27:28], v[29:30]
	ds_read_b32 v27, v47 offset:4100
	s_waitcnt lgkmcnt(0)
	v_cmp_gt_i32_e64 s[18:19], v2, v27
	s_and_b64 s[18:19], vcc, s[18:19]
	s_or_b64 s[16:17], s[16:17], s[18:19]
	s_and_b64 exec, exec, s[16:17]
	s_cbranch_execz .LBB2_181
; %bb.180:                              ;   in Loop: Header=BB2_66 Depth=3
	ds_write_b64 v46, v[29:30]
	ds_write_b32 v47, v27 offset:4096
.LBB2_181:                              ;   in Loop: Header=BB2_66 Depth=3
	s_or_b64 exec, exec, s[26:27]
	s_waitcnt lgkmcnt(0)
	s_barrier
	ds_read_b64 v[27:28], v51
	s_add_i32 s18, s62, 1
	s_waitcnt lgkmcnt(0)
	v_cmp_ge_f64_e32 vcc, v[27:28], v[15:16]
	v_cndmask_b32_e64 v2, 0, 1, vcc
	v_readfirstlane_b32 s16, v2
	s_add_i32 s51, s51, s16
	s_cmp_lt_u32 s62, 4
	s_cselect_b64 s[26:27], -1, 0
	s_cmp_lt_u32 s51, 2
	s_cselect_b64 s[16:17], -1, 0
	s_and_b64 s[26:27], s[26:27], s[16:17]
	s_and_b64 vcc, exec, s[26:27]
	s_cbranch_vccz .LBB2_183
; %bb.182:                              ;   in Loop: Header=BB2_66 Depth=3
	s_mov_b32 s62, s18
	s_branch .LBB2_66
.LBB2_183:                              ;   in Loop: Header=BB2_22 Depth=2
	s_and_b64 s[18:19], s[80:81], s[16:17]
	s_and_saveexec_b64 s[16:17], s[18:19]
	s_cbranch_execz .LBB2_185
; %bb.184:                              ;   in Loop: Header=BB2_22 Depth=2
	ds_read_b32 v27, v1
	v_readlane_b32 s26, v61, 2
	v_readlane_b32 s27, v61, 3
	s_add_i32 s18, s50, 1
	v_mov_b32_e32 v2, s27
	s_waitcnt lgkmcnt(0)
	v_ashrrev_i32_e32 v28, 31, v27
	v_lshlrev_b64 v[28:29], 2, v[27:28]
	v_mov_b32_e32 v30, s18
	v_add_co_u32_e32 v28, vcc, s26, v28
	v_addc_co_u32_e32 v29, vcc, v2, v29, vcc
	v_add_u32_e32 v2, 1, v27
	global_store_dword v[28:29], v30, off
	ds_write_b32 v1, v2
.LBB2_185:                              ;   in Loop: Header=BB2_22 Depth=2
	s_or_b64 exec, exec, s[16:17]
	v_mov_b32_e32 v27, 0
	v_mov_b32_e32 v28, 0
	v_bfrev_b32_e32 v2, -2
	s_and_saveexec_b64 s[26:27], s[12:13]
	v_readlane_b32 s64, v61, 34
	v_readlane_b32 s62, v61, 27
	;; [unrolled: 1-line block ×3, first 2 shown]
	s_cbranch_execz .LBB2_189
; %bb.186:                              ;   in Loop: Header=BB2_22 Depth=2
	v_mov_b32_e32 v27, 0
	v_mov_b32_e32 v30, v4
	;; [unrolled: 1-line block ×3, first 2 shown]
	v_bfrev_b32_e32 v2, -2
	s_mov_b64 s[38:39], 0
	v_mov_b32_e32 v29, v3
	v_mov_b32_e32 v31, v0
.LBB2_187:                              ;   Parent Loop BB2_12 Depth=1
                                        ;     Parent Loop BB2_22 Depth=2
                                        ; =>    This Inner Loop Header: Depth=3
	global_load_dwordx2 v[32:33], v[29:30], off
	v_add_co_u32_e32 v29, vcc, 0x800, v29
	v_cmp_eq_u32_e64 s[16:17], s55, v2
	v_add_u32_e32 v34, 1, v31
	v_add_u32_e32 v31, 0x100, v31
	v_addc_co_u32_e32 v30, vcc, 0, v30, vcc
	v_cmp_ge_u32_e64 s[18:19], v31, v52
	s_waitcnt vmcnt(0)
	v_cmp_lt_f64_e64 s[52:53], v[27:28], |v[32:33]|
	v_and_b32_e32 v33, 0x7fffffff, v33
	s_or_b64 vcc, s[52:53], s[16:17]
	v_cndmask_b32_e32 v28, v28, v33, vcc
	v_cndmask_b32_e32 v27, v27, v32, vcc
	s_or_b64 s[38:39], s[18:19], s[38:39]
	v_cndmask_b32_e32 v2, v2, v34, vcc
	s_andn2_b64 exec, exec, s[38:39]
	s_cbranch_execnz .LBB2_187
; %bb.188:                              ;   in Loop: Header=BB2_22 Depth=2
	s_or_b64 exec, exec, s[38:39]
.LBB2_189:                              ;   in Loop: Header=BB2_22 Depth=2
	s_or_b64 exec, exec, s[26:27]
	ds_write_b64 v46, v[27:28]
	ds_write_b32 v47, v2 offset:4096
	s_waitcnt vmcnt(0) lgkmcnt(0)
	s_barrier
	s_and_saveexec_b64 s[18:19], s[2:3]
	s_cbranch_execz .LBB2_195
; %bb.190:                              ;   in Loop: Header=BB2_22 Depth=2
	ds_read_b64 v[29:30], v46 offset:1024
	ds_read_b32 v31, v47 offset:4608
	s_waitcnt lgkmcnt(1)
	v_cmp_lt_f64_e64 s[26:27], v[27:28], v[29:30]
	v_cmp_nlt_f64_e32 vcc, v[27:28], v[29:30]
	s_and_saveexec_b64 s[38:39], vcc
	s_cbranch_execz .LBB2_192
; %bb.191:                              ;   in Loop: Header=BB2_22 Depth=2
	v_cmp_eq_f64_e32 vcc, v[27:28], v[29:30]
	s_waitcnt lgkmcnt(0)
	v_cmp_gt_i32_e64 s[16:17], v2, v31
	s_andn2_b64 s[26:27], s[26:27], exec
	s_and_b64 s[16:17], vcc, s[16:17]
	s_and_b64 s[16:17], s[16:17], exec
	s_or_b64 s[26:27], s[26:27], s[16:17]
.LBB2_192:                              ;   in Loop: Header=BB2_22 Depth=2
	s_or_b64 exec, exec, s[38:39]
	s_and_saveexec_b64 s[16:17], s[26:27]
	s_cbranch_execz .LBB2_194
; %bb.193:                              ;   in Loop: Header=BB2_22 Depth=2
	v_mov_b32_e32 v27, v29
	s_waitcnt lgkmcnt(0)
	v_mov_b32_e32 v2, v31
	v_mov_b32_e32 v28, v30
	ds_write_b64 v46, v[29:30]
	ds_write_b32 v47, v31 offset:4096
.LBB2_194:                              ;   in Loop: Header=BB2_22 Depth=2
	s_or_b64 exec, exec, s[16:17]
.LBB2_195:                              ;   in Loop: Header=BB2_22 Depth=2
	s_or_b64 exec, exec, s[18:19]
	s_waitcnt lgkmcnt(0)
	s_barrier
	s_and_saveexec_b64 s[26:27], s[4:5]
	s_cbranch_execz .LBB2_222
; %bb.196:                              ;   in Loop: Header=BB2_22 Depth=2
	ds_read_b64 v[29:30], v46 offset:512
	ds_read_b32 v31, v47 offset:4352
	s_waitcnt lgkmcnt(1)
	v_cmp_lt_f64_e64 s[18:19], v[27:28], v[29:30]
	v_cmp_nlt_f64_e32 vcc, v[27:28], v[29:30]
	s_and_saveexec_b64 s[38:39], vcc
	s_cbranch_execz .LBB2_198
; %bb.197:                              ;   in Loop: Header=BB2_22 Depth=2
	v_cmp_eq_f64_e32 vcc, v[27:28], v[29:30]
	s_waitcnt lgkmcnt(0)
	v_cmp_gt_i32_e64 s[16:17], v2, v31
	s_andn2_b64 s[18:19], s[18:19], exec
	s_and_b64 s[16:17], vcc, s[16:17]
	s_and_b64 s[16:17], s[16:17], exec
	s_or_b64 s[18:19], s[18:19], s[16:17]
.LBB2_198:                              ;   in Loop: Header=BB2_22 Depth=2
	s_or_b64 exec, exec, s[38:39]
	s_and_saveexec_b64 s[16:17], s[18:19]
	s_cbranch_execz .LBB2_200
; %bb.199:                              ;   in Loop: Header=BB2_22 Depth=2
	v_mov_b32_e32 v27, v29
	v_mov_b32_e32 v28, v30
	s_waitcnt lgkmcnt(0)
	v_mov_b32_e32 v2, v31
	ds_write_b64 v46, v[29:30]
	ds_write_b32 v47, v31 offset:4096
.LBB2_200:                              ;   in Loop: Header=BB2_22 Depth=2
	s_or_b64 exec, exec, s[16:17]
	ds_read_b64 v[29:30], v46 offset:256
	s_waitcnt lgkmcnt(1)
	ds_read_b32 v31, v47 offset:4224
	s_waitcnt lgkmcnt(1)
	v_cmp_lt_f64_e64 s[18:19], v[27:28], v[29:30]
	v_cmp_nlt_f64_e32 vcc, v[27:28], v[29:30]
	s_and_saveexec_b64 s[38:39], vcc
	s_cbranch_execz .LBB2_202
; %bb.201:                              ;   in Loop: Header=BB2_22 Depth=2
	v_cmp_eq_f64_e32 vcc, v[27:28], v[29:30]
	s_waitcnt lgkmcnt(0)
	v_cmp_gt_i32_e64 s[16:17], v2, v31
	s_andn2_b64 s[18:19], s[18:19], exec
	s_and_b64 s[16:17], vcc, s[16:17]
	s_and_b64 s[16:17], s[16:17], exec
	s_or_b64 s[18:19], s[18:19], s[16:17]
.LBB2_202:                              ;   in Loop: Header=BB2_22 Depth=2
	s_or_b64 exec, exec, s[38:39]
	s_and_saveexec_b64 s[16:17], s[18:19]
	s_cbranch_execz .LBB2_204
; %bb.203:                              ;   in Loop: Header=BB2_22 Depth=2
	v_mov_b32_e32 v27, v29
	v_mov_b32_e32 v28, v30
	s_waitcnt lgkmcnt(0)
	v_mov_b32_e32 v2, v31
	ds_write_b64 v46, v[29:30]
	ds_write_b32 v47, v31 offset:4096
.LBB2_204:                              ;   in Loop: Header=BB2_22 Depth=2
	s_or_b64 exec, exec, s[16:17]
	ds_read_b64 v[29:30], v46 offset:128
	s_waitcnt lgkmcnt(1)
	;; [unrolled: 29-line block ×6, first 2 shown]
	v_cmp_eq_f64_e32 vcc, v[27:28], v[29:30]
	v_cmp_lt_f64_e64 s[16:17], v[27:28], v[29:30]
	ds_read_b32 v27, v47 offset:4100
	s_waitcnt lgkmcnt(0)
	v_cmp_gt_i32_e64 s[18:19], v2, v27
	s_and_b64 s[18:19], vcc, s[18:19]
	s_or_b64 s[16:17], s[16:17], s[18:19]
	s_and_b64 exec, exec, s[16:17]
	s_cbranch_execz .LBB2_222
; %bb.221:                              ;   in Loop: Header=BB2_22 Depth=2
	ds_write_b64 v46, v[29:30]
	ds_write_b32 v47, v27 offset:4096
.LBB2_222:                              ;   in Loop: Header=BB2_22 Depth=2
	s_or_b64 exec, exec, s[26:27]
	v_mov_b32_e32 v27, 0
	v_mov_b32_e32 v28, 0
	s_and_saveexec_b64 s[18:19], s[12:13]
	s_cbranch_execz .LBB2_226
; %bb.223:                              ;   in Loop: Header=BB2_22 Depth=2
	v_mov_b32_e32 v27, 0
	v_mov_b32_e32 v30, v4
	;; [unrolled: 1-line block ×3, first 2 shown]
	s_mov_b64 s[26:27], 0
	v_mov_b32_e32 v29, v3
	v_mov_b32_e32 v2, v0
.LBB2_224:                              ;   Parent Loop BB2_12 Depth=1
                                        ;     Parent Loop BB2_22 Depth=2
                                        ; =>    This Inner Loop Header: Depth=3
	global_load_dwordx2 v[31:32], v[29:30], off
	v_add_u32_e32 v2, 0x100, v2
	v_add_co_u32_e32 v29, vcc, 0x800, v29
	v_cmp_ge_u32_e64 s[16:17], v2, v52
	s_or_b64 s[26:27], s[16:17], s[26:27]
	v_addc_co_u32_e32 v30, vcc, 0, v30, vcc
	s_waitcnt vmcnt(0)
	v_fma_f64 v[27:28], v[31:32], v[31:32], v[27:28]
	s_andn2_b64 exec, exec, s[26:27]
	s_cbranch_execnz .LBB2_224
; %bb.225:                              ;   in Loop: Header=BB2_22 Depth=2
	s_or_b64 exec, exec, s[26:27]
.LBB2_226:                              ;   in Loop: Header=BB2_22 Depth=2
	s_or_b64 exec, exec, s[18:19]
	v_add_u32_e32 v2, v47, v45
	ds_write_b64 v2, v[27:28] offset:2048
	s_waitcnt lgkmcnt(0)
	s_barrier
	s_and_saveexec_b64 s[16:17], s[2:3]
	s_cbranch_execz .LBB2_228
; %bb.227:                              ;   in Loop: Header=BB2_22 Depth=2
	ds_read_b64 v[29:30], v2 offset:3072
	s_waitcnt lgkmcnt(0)
	v_add_f64 v[27:28], v[27:28], v[29:30]
.LBB2_228:                              ;   in Loop: Header=BB2_22 Depth=2
	s_or_b64 exec, exec, s[16:17]
	s_barrier
	s_and_saveexec_b64 s[16:17], s[2:3]
; %bb.229:                              ;   in Loop: Header=BB2_22 Depth=2
	ds_write_b64 v2, v[27:28] offset:2048
; %bb.230:                              ;   in Loop: Header=BB2_22 Depth=2
	s_or_b64 exec, exec, s[16:17]
	s_waitcnt lgkmcnt(0)
	s_barrier
	s_and_saveexec_b64 s[16:17], s[4:5]
	s_cbranch_execz .LBB2_232
; %bb.231:                              ;   in Loop: Header=BB2_22 Depth=2
	ds_read2st64_b64 v[27:30], v2 offset0:4 offset1:5
	v_add_u32_e32 v31, 0x800, v2
	s_waitcnt lgkmcnt(0)
	v_add_f64 v[27:28], v[27:28], v[29:30]
	ds_write_b64 v2, v[27:28] offset:2048
	s_waitcnt lgkmcnt(0)
	buffer_wbinvl1_vol
	ds_read2_b64 v[27:30], v31 offset1:32
	s_waitcnt lgkmcnt(0)
	v_add_f64 v[27:28], v[27:28], v[29:30]
	ds_write_b64 v2, v[27:28] offset:2048
	s_waitcnt lgkmcnt(0)
	buffer_wbinvl1_vol
	ds_read2_b64 v[27:30], v31 offset1:16
	;; [unrolled: 6-line block ×6, first 2 shown]
	s_waitcnt lgkmcnt(0)
	v_add_f64 v[27:28], v[27:28], v[29:30]
	ds_write_b64 v2, v[27:28] offset:2048
	s_waitcnt lgkmcnt(0)
	buffer_wbinvl1_vol
.LBB2_232:                              ;   in Loop: Header=BB2_22 Depth=2
	s_or_b64 exec, exec, s[16:17]
	s_and_saveexec_b64 s[16:17], s[0:1]
	s_cbranch_execz .LBB2_234
; %bb.233:                              ;   in Loop: Header=BB2_22 Depth=2
	ds_read_b64 v[27:28], v51 offset:2048
	s_mov_b32 s18, 0
	s_brev_b32 s19, 8
	s_waitcnt lgkmcnt(0)
	v_cmp_gt_f64_e32 vcc, s[18:19], v[27:28]
	s_and_b64 s[18:19], vcc, exec
	s_cselect_b32 s18, 0x100, 0
	v_ldexp_f64 v[27:28], v[27:28], s18
	s_cselect_b32 s18, 0xffffff80, 0
	v_rsq_f64_e32 v[29:30], v[27:28]
	v_cmp_class_f64_e32 vcc, v[27:28], v48
	v_mul_f64 v[31:32], v[27:28], v[29:30]
	v_mul_f64 v[29:30], v[29:30], 0.5
	v_fma_f64 v[33:34], -v[29:30], v[31:32], 0.5
	v_fma_f64 v[31:32], v[31:32], v[33:34], v[31:32]
	v_fma_f64 v[29:30], v[29:30], v[33:34], v[29:30]
	v_fma_f64 v[33:34], -v[31:32], v[31:32], v[27:28]
	v_fma_f64 v[31:32], v[33:34], v[29:30], v[31:32]
	v_fma_f64 v[33:34], -v[31:32], v[31:32], v[27:28]
	v_fma_f64 v[29:30], v[33:34], v[29:30], v[31:32]
	v_ldexp_f64 v[29:30], v[29:30], s18
	v_cndmask_b32_e32 v28, v30, v28, vcc
	v_cndmask_b32_e32 v27, v29, v27, vcc
	ds_write_b64 v51, v[27:28] offset:2048
.LBB2_234:                              ;   in Loop: Header=BB2_22 Depth=2
	s_or_b64 exec, exec, s[16:17]
	s_waitcnt lgkmcnt(0)
	s_barrier
	ds_read_b32 v29, v51 offset:4096
	ds_read_b64 v[27:28], v51 offset:2048
	v_mov_b32_e32 v2, s37
	s_waitcnt lgkmcnt(1)
	v_ashrrev_i32_e32 v30, 31, v29
	v_lshlrev_b64 v[29:30], 3, v[29:30]
	v_add_co_u32_e32 v29, vcc, s36, v29
	v_addc_co_u32_e32 v30, vcc, v2, v30, vcc
	global_load_dwordx2 v[29:30], v[29:30], off offset:-8
	s_waitcnt vmcnt(0) lgkmcnt(0)
	s_barrier
	s_and_saveexec_b64 s[16:17], s[8:9]
	s_cbranch_execz .LBB2_237
; %bb.235:                              ;   in Loop: Header=BB2_22 Depth=2
	v_cmp_nle_f64_e32 vcc, 0, v[29:30]
	s_mov_b32 s19, 0xbff00000
	s_mov_b32 s18, s21
	v_mov_b32_e32 v2, v0
	s_and_b64 s[26:27], vcc, exec
	s_cselect_b32 s19, s19, 0x3ff00000
	v_div_scale_f64 v[29:30], s[26:27], v[27:28], v[27:28], s[18:19]
	v_div_scale_f64 v[35:36], vcc, s[18:19], v[27:28], s[18:19]
	v_rcp_f64_e32 v[31:32], v[29:30]
	v_fma_f64 v[33:34], -v[29:30], v[31:32], 1.0
	v_fma_f64 v[31:32], v[31:32], v[33:34], v[31:32]
	v_fma_f64 v[33:34], -v[29:30], v[31:32], 1.0
	v_fma_f64 v[31:32], v[31:32], v[33:34], v[31:32]
	v_mul_f64 v[33:34], v[35:36], v[31:32]
	v_fma_f64 v[29:30], -v[29:30], v[33:34], v[35:36]
	v_div_fmas_f64 v[29:30], v[29:30], v[31:32], v[33:34]
	v_div_fixup_f64 v[27:28], v[29:30], v[27:28], s[18:19]
	v_mov_b32_e32 v30, v4
	s_mov_b64 s[18:19], 0
	v_mov_b32_e32 v29, v3
.LBB2_236:                              ;   Parent Loop BB2_12 Depth=1
                                        ;     Parent Loop BB2_22 Depth=2
                                        ; =>    This Inner Loop Header: Depth=3
	global_load_dwordx2 v[31:32], v[29:30], off
	v_add_u32_e32 v2, 0x100, v2
	v_cmp_lt_i32_e32 vcc, s88, v2
	s_or_b64 s[18:19], vcc, s[18:19]
	s_waitcnt vmcnt(0)
	v_mul_f64 v[31:32], v[27:28], v[31:32]
	global_store_dwordx2 v[29:30], v[31:32], off
	v_add_co_u32_e32 v29, vcc, 0x800, v29
	v_addc_co_u32_e32 v30, vcc, 0, v30, vcc
	s_andn2_b64 exec, exec, s[18:19]
	s_cbranch_execnz .LBB2_236
.LBB2_237:                              ;   in Loop: Header=BB2_22 Depth=2
	s_or_b64 exec, exec, s[16:17]
	s_waitcnt vmcnt(0)
	s_barrier
.LBB2_238:                              ;   in Loop: Header=BB2_22 Depth=2
	s_waitcnt vmcnt(0)
	v_mov_b32_e32 v28, v26
	v_mov_b32_e32 v27, v25
	s_and_saveexec_b64 s[18:19], s[90:91]
	s_cbranch_execz .LBB2_243
; %bb.239:                              ;   in Loop: Header=BB2_22 Depth=2
	s_mov_b64 s[26:27], 0
	v_mov_b32_e32 v2, v0
	s_branch .LBB2_241
.LBB2_240:                              ;   in Loop: Header=BB2_241 Depth=3
	s_or_b64 exec, exec, s[16:17]
	v_add_u32_e32 v29, s11, v2
	v_ashrrev_i32_e32 v30, 31, v29
	v_lshlrev_b64 v[29:30], 3, v[29:30]
	v_mov_b32_e32 v31, s72
	v_add_co_u32_e32 v29, vcc, s56, v29
	v_addc_co_u32_e32 v30, vcc, v31, v30, vcc
	v_add_u32_e32 v2, 0x100, v2
	v_cmp_le_i32_e32 vcc, s54, v2
	s_or_b64 s[26:27], vcc, s[26:27]
	s_waitcnt vmcnt(0)
	global_store_dwordx2 v[29:30], v[25:26], off
	s_andn2_b64 exec, exec, s[26:27]
	s_cbranch_execz .LBB2_243
.LBB2_241:                              ;   Parent Loop BB2_12 Depth=1
                                        ;     Parent Loop BB2_22 Depth=2
                                        ; =>    This Inner Loop Header: Depth=3
	v_cmp_le_i32_e32 vcc, s84, v2
	v_cmp_gt_i32_e64 s[16:17], s86, v2
	v_mov_b32_e32 v25, 0
	v_mov_b32_e32 v26, 0
	s_and_b64 s[38:39], vcc, s[16:17]
	s_and_saveexec_b64 s[16:17], s[38:39]
	s_cbranch_execz .LBB2_240
; %bb.242:                              ;   in Loop: Header=BB2_241 Depth=3
	v_add_u32_e32 v25, s89, v2
	v_mov_b32_e32 v26, v1
	v_lshlrev_b64 v[25:26], 3, v[25:26]
	v_mov_b32_e32 v29, s37
	v_add_co_u32_e32 v25, vcc, s36, v25
	v_addc_co_u32_e32 v26, vcc, v29, v26, vcc
	global_load_dwordx2 v[25:26], v[25:26], off
	s_branch .LBB2_240
.LBB2_243:                              ;   in Loop: Header=BB2_22 Depth=2
	s_or_b64 exec, exec, s[18:19]
	s_add_i32 s10, s10, 1
	s_add_i32 s50, s50, 1
	;; [unrolled: 1-line block ×3, first 2 shown]
	s_cmp_ge_i32 s50, s92
	s_waitcnt vmcnt(0)
	s_barrier
	s_cselect_b64 s[16:17], -1, 0
	s_mov_b32 s18, s7
	s_and_b64 vcc, exec, s[16:17]
	s_cbranch_vccz .LBB2_22
	s_branch .LBB2_10
.LBB2_244:
	s_and_saveexec_b64 s[2:3], s[0:1]
	s_cbranch_execz .LBB2_246
; %bb.245:
	v_mov_b32_e32 v0, 0
	ds_read_b32 v1, v0
	v_readlane_b32 s0, v61, 0
	v_readlane_b32 s1, v61, 1
	s_add_u32 s0, s22, s0
	s_addc_u32 s1, s23, s1
	s_waitcnt lgkmcnt(0)
	s_nop 1
	global_store_dword v0, v1, s[0:1]
.LBB2_246:
	s_endpgm
	.section	.rodata,"a",@progbits
	.p2align	6, 0x0
	.amdhsa_kernel _ZN9rocsolver6v33100L12stein_kernelIddPdEEviPT0_lS4_lPiS4_lS5_lS5_lT1_iilS5_lS5_S4_S5_S3_S3_
		.amdhsa_group_segment_fixed_size 8
		.amdhsa_private_segment_fixed_size 0
		.amdhsa_kernarg_size 176
		.amdhsa_user_sgpr_count 6
		.amdhsa_user_sgpr_private_segment_buffer 1
		.amdhsa_user_sgpr_dispatch_ptr 0
		.amdhsa_user_sgpr_queue_ptr 0
		.amdhsa_user_sgpr_kernarg_segment_ptr 1
		.amdhsa_user_sgpr_dispatch_id 0
		.amdhsa_user_sgpr_flat_scratch_init 0
		.amdhsa_user_sgpr_private_segment_size 0
		.amdhsa_uses_dynamic_stack 0
		.amdhsa_system_sgpr_private_segment_wavefront_offset 0
		.amdhsa_system_sgpr_workgroup_id_x 1
		.amdhsa_system_sgpr_workgroup_id_y 1
		.amdhsa_system_sgpr_workgroup_id_z 0
		.amdhsa_system_sgpr_workgroup_info 0
		.amdhsa_system_vgpr_workitem_id 0
		.amdhsa_next_free_vgpr 62
		.amdhsa_next_free_sgpr 96
		.amdhsa_reserve_vcc 1
		.amdhsa_reserve_flat_scratch 0
		.amdhsa_float_round_mode_32 0
		.amdhsa_float_round_mode_16_64 0
		.amdhsa_float_denorm_mode_32 3
		.amdhsa_float_denorm_mode_16_64 3
		.amdhsa_dx10_clamp 1
		.amdhsa_ieee_mode 1
		.amdhsa_fp16_overflow 0
		.amdhsa_exception_fp_ieee_invalid_op 0
		.amdhsa_exception_fp_denorm_src 0
		.amdhsa_exception_fp_ieee_div_zero 0
		.amdhsa_exception_fp_ieee_overflow 0
		.amdhsa_exception_fp_ieee_underflow 0
		.amdhsa_exception_fp_ieee_inexact 0
		.amdhsa_exception_int_div_zero 0
	.end_amdhsa_kernel
	.section	.text._ZN9rocsolver6v33100L12stein_kernelIddPdEEviPT0_lS4_lPiS4_lS5_lS5_lT1_iilS5_lS5_S4_S5_S3_S3_,"axG",@progbits,_ZN9rocsolver6v33100L12stein_kernelIddPdEEviPT0_lS4_lPiS4_lS5_lS5_lT1_iilS5_lS5_S4_S5_S3_S3_,comdat
.Lfunc_end2:
	.size	_ZN9rocsolver6v33100L12stein_kernelIddPdEEviPT0_lS4_lPiS4_lS5_lS5_lT1_iilS5_lS5_S4_S5_S3_S3_, .Lfunc_end2-_ZN9rocsolver6v33100L12stein_kernelIddPdEEviPT0_lS4_lPiS4_lS5_lS5_lT1_iilS5_lS5_S4_S5_S3_S3_
                                        ; -- End function
	.set _ZN9rocsolver6v33100L12stein_kernelIddPdEEviPT0_lS4_lPiS4_lS5_lS5_lT1_iilS5_lS5_S4_S5_S3_S3_.num_vgpr, 62
	.set _ZN9rocsolver6v33100L12stein_kernelIddPdEEviPT0_lS4_lPiS4_lS5_lS5_lT1_iilS5_lS5_S4_S5_S3_S3_.num_agpr, 0
	.set _ZN9rocsolver6v33100L12stein_kernelIddPdEEviPT0_lS4_lPiS4_lS5_lS5_lT1_iilS5_lS5_S4_S5_S3_S3_.numbered_sgpr, 96
	.set _ZN9rocsolver6v33100L12stein_kernelIddPdEEviPT0_lS4_lPiS4_lS5_lS5_lT1_iilS5_lS5_S4_S5_S3_S3_.num_named_barrier, 0
	.set _ZN9rocsolver6v33100L12stein_kernelIddPdEEviPT0_lS4_lPiS4_lS5_lS5_lT1_iilS5_lS5_S4_S5_S3_S3_.private_seg_size, 0
	.set _ZN9rocsolver6v33100L12stein_kernelIddPdEEviPT0_lS4_lPiS4_lS5_lS5_lT1_iilS5_lS5_S4_S5_S3_S3_.uses_vcc, 1
	.set _ZN9rocsolver6v33100L12stein_kernelIddPdEEviPT0_lS4_lPiS4_lS5_lS5_lT1_iilS5_lS5_S4_S5_S3_S3_.uses_flat_scratch, 0
	.set _ZN9rocsolver6v33100L12stein_kernelIddPdEEviPT0_lS4_lPiS4_lS5_lS5_lT1_iilS5_lS5_S4_S5_S3_S3_.has_dyn_sized_stack, 0
	.set _ZN9rocsolver6v33100L12stein_kernelIddPdEEviPT0_lS4_lPiS4_lS5_lS5_lT1_iilS5_lS5_S4_S5_S3_S3_.has_recursion, 0
	.set _ZN9rocsolver6v33100L12stein_kernelIddPdEEviPT0_lS4_lPiS4_lS5_lS5_lT1_iilS5_lS5_S4_S5_S3_S3_.has_indirect_call, 0
	.section	.AMDGPU.csdata,"",@progbits
; Kernel info:
; codeLenInByte = 10852
; TotalNumSgprs: 100
; NumVgprs: 62
; ScratchSize: 0
; MemoryBound: 1
; FloatMode: 240
; IeeeMode: 1
; LDSByteSize: 8 bytes/workgroup (compile time only)
; SGPRBlocks: 12
; VGPRBlocks: 15
; NumSGPRsForWavesPerEU: 100
; NumVGPRsForWavesPerEU: 62
; Occupancy: 4
; WaveLimiterHint : 1
; COMPUTE_PGM_RSRC2:SCRATCH_EN: 0
; COMPUTE_PGM_RSRC2:USER_SGPR: 6
; COMPUTE_PGM_RSRC2:TRAP_HANDLER: 0
; COMPUTE_PGM_RSRC2:TGID_X_EN: 1
; COMPUTE_PGM_RSRC2:TGID_Y_EN: 1
; COMPUTE_PGM_RSRC2:TGID_Z_EN: 0
; COMPUTE_PGM_RSRC2:TIDIG_COMP_CNT: 0
	.section	.text._ZN9rocsolver6v33100L12stein_kernelI19rocblas_complex_numIfEfPS3_EEviPT0_lS6_lPiS6_lS7_lS7_lT1_iilS7_lS7_S6_S7_S5_S5_,"axG",@progbits,_ZN9rocsolver6v33100L12stein_kernelI19rocblas_complex_numIfEfPS3_EEviPT0_lS6_lPiS6_lS7_lS7_lT1_iilS7_lS7_S6_S7_S5_S5_,comdat
	.globl	_ZN9rocsolver6v33100L12stein_kernelI19rocblas_complex_numIfEfPS3_EEviPT0_lS6_lPiS6_lS7_lS7_lT1_iilS7_lS7_S6_S7_S5_S5_ ; -- Begin function _ZN9rocsolver6v33100L12stein_kernelI19rocblas_complex_numIfEfPS3_EEviPT0_lS6_lPiS6_lS7_lS7_lT1_iilS7_lS7_S6_S7_S5_S5_
	.p2align	8
	.type	_ZN9rocsolver6v33100L12stein_kernelI19rocblas_complex_numIfEfPS3_EEviPT0_lS6_lPiS6_lS7_lS7_lT1_iilS7_lS7_S6_S7_S5_S5_,@function
_ZN9rocsolver6v33100L12stein_kernelI19rocblas_complex_numIfEfPS3_EEviPT0_lS6_lPiS6_lS7_lS7_lT1_iilS7_lS7_S6_S7_S5_S5_: ; @_ZN9rocsolver6v33100L12stein_kernelI19rocblas_complex_numIfEfPS3_EEviPT0_lS6_lPiS6_lS7_lS7_lT1_iilS7_lS7_S6_S7_S5_S5_
; %bb.0:
	s_load_dwordx16 s[8:23], s[4:5], 0x8
	s_mov_b32 s6, s7
	s_ashr_i32 s7, s7, 31
	s_lshl_b64 s[2:3], s[6:7], 2
	s_waitcnt lgkmcnt(0)
	s_add_u32 s0, s16, s2
	s_addc_u32 s1, s17, s3
	s_load_dword s48, s[0:1], 0x0
	s_waitcnt lgkmcnt(0)
	s_cmp_lt_i32 s48, 1
	s_cbranch_scc1 .LBB3_244
; %bb.1:
	s_load_dwordx8 s[24:31], s[4:5], 0x70
	s_load_dwordx4 s[44:47], s[4:5], 0x90
                                        ; implicit-def: $vgpr41 : SGPR spill to VGPR lane
	s_mov_b64 s[0:1], 0
	v_writelane_b32 v41, s2, 0
	v_writelane_b32 v41, s3, 1
	s_waitcnt lgkmcnt(0)
	s_cmp_eq_u64 s[26:27], 0
	v_writelane_b32 v41, s0, 2
	v_writelane_b32 v41, s1, 3
	s_cbranch_scc1 .LBB3_3
; %bb.2:
	s_mul_i32 s0, s28, s7
	s_mul_hi_u32 s1, s28, s6
	s_add_i32 s0, s1, s0
	s_mul_i32 s1, s29, s6
	s_add_i32 s1, s0, s1
	s_mul_i32 s0, s28, s6
	s_lshl_b64 s[0:1], s[0:1], 2
	s_add_u32 s0, s26, s0
	s_addc_u32 s1, s27, s1
	v_writelane_b32 v41, s0, 2
	v_writelane_b32 v41, s1, 3
.LBB3_3:
	v_cmp_eq_u32_e64 s[0:1], 0, v0
	s_and_saveexec_b64 s[2:3], s[0:1]
; %bb.4:
	v_mov_b32_e32 v1, 0
	ds_write_b32 v1, v1
; %bb.5:
	s_or_b64 exec, exec, s[2:3]
	v_readlane_b32 s2, v41, 2
	v_readlane_b32 s3, v41, 3
	s_cmp_lg_u64 s[2:3], 0
	s_cselect_b64 s[16:17], -1, 0
	v_cmp_gt_u32_e32 vcc, s48, v0
	s_mov_b64 s[26:27], 0
	s_and_b64 s[2:3], vcc, s[16:17]
	v_lshlrev_b32_e32 v5, 2, v0
	s_and_saveexec_b64 s[28:29], s[2:3]
	s_cbranch_execz .LBB3_8
; %bb.6:
	v_readlane_b32 s2, v41, 2
	v_readlane_b32 s3, v41, 3
	v_mov_b32_e32 v2, s3
	v_add_co_u32_e32 v1, vcc, s2, v5
	v_mov_b32_e32 v3, 0
	v_addc_co_u32_e32 v2, vcc, 0, v2, vcc
	v_mov_b32_e32 v4, v0
.LBB3_7:                                ; =>This Inner Loop Header: Depth=1
	v_add_u32_e32 v4, 0x100, v4
	global_store_dword v[1:2], v3, off
	v_add_co_u32_e32 v1, vcc, 0x400, v1
	v_cmp_le_i32_e64 s[2:3], s48, v4
	s_or_b64 s[26:27], s[2:3], s[26:27]
	v_addc_co_u32_e32 v2, vcc, 0, v2, vcc
	s_andn2_b64 exec, exec, s[26:27]
	s_cbranch_execnz .LBB3_7
.LBB3_8:
	v_writelane_b32 v41, s24, 4
	v_writelane_b32 v41, s25, 5
	;; [unrolled: 1-line block ×8, first 2 shown]
	s_or_b64 exec, exec, s[28:29]
	s_load_dwordx8 s[36:43], s[4:5], 0x48
	s_mov_b32 s27, 0
	s_mov_b32 s49, s27
	v_mov_b32_e32 v2, 0
	s_waitcnt lgkmcnt(0)
	s_mul_i32 s3, s36, s7
	s_mul_hi_u32 s24, s36, s6
	s_mul_i32 s25, s37, s6
	s_add_i32 s3, s24, s3
	s_mul_i32 s2, s36, s6
	s_add_i32 s3, s3, s25
	s_lshl_b64 s[2:3], s[2:3], 2
	s_add_u32 s33, s22, s2
	s_addc_u32 s34, s23, s3
	s_lshl_b64 s[2:3], s[48:49], 2
	s_add_u32 s2, s33, s2
	s_addc_u32 s3, s34, s3
	v_writelane_b32 v41, s2, 12
	v_writelane_b32 v41, s3, 13
	s_nop 3
	global_load_dword v1, v2, s[2:3] offset:-4
	s_waitcnt vmcnt(0)
	v_cmp_gt_i32_e32 vcc, 1, v1
	s_cbranch_vccnz .LBB3_242
; %bb.9:
	s_load_dword s28, s[4:5], 0x0
	s_mul_i32 s2, s10, s7
	s_mul_hi_u32 s3, s10, s6
	s_add_i32 s2, s3, s2
	s_mul_i32 s3, s11, s6
	s_add_i32 s3, s2, s3
	s_mul_i32 s2, s10, s6
	s_waitcnt lgkmcnt(0)
	s_ashr_i32 s29, s28, 31
	s_lshl_b64 s[2:3], s[2:3], 2
	s_add_u32 s26, s8, s2
	s_load_dwordx2 s[36:37], s[4:5], 0x68
	s_load_dwordx2 s[52:53], s[4:5], 0xa0
	s_addc_u32 s49, s9, s3
	s_mul_i32 s2, s14, s7
	s_mul_hi_u32 s3, s14, s6
	s_add_i32 s2, s3, s2
	s_mul_i32 s3, s15, s6
	s_add_i32 s3, s2, s3
	s_mul_i32 s2, s14, s6
	s_lshl_b64 s[2:3], s[2:3], 2
	s_add_u32 s82, s12, s2
	s_addc_u32 s23, s13, s3
	s_mul_i32 s2, s20, s7
	s_mul_hi_u32 s3, s20, s6
	s_waitcnt lgkmcnt(0)
	v_div_scale_f32 v3, s[8:9], s53, s53, 1.0
	s_add_i32 s2, s3, s2
	s_mul_i32 s3, s21, s6
	s_add_i32 s3, s2, s3
	s_mul_i32 s2, s20, s6
	s_lshl_b64 s[2:3], s[2:3], 2
	s_add_u32 s24, s18, s2
	s_addc_u32 s25, s19, s3
	s_mul_i32 s2, s40, s7
	s_mul_hi_u32 s3, s40, s6
	s_add_i32 s2, s3, s2
	s_mul_i32 s3, s41, s6
	v_div_scale_f32 v4, vcc, 1.0, s53, 1.0
	s_add_i32 s3, s2, s3
	s_mul_i32 s2, s40, s6
	s_lshl_b64 s[2:3], s[2:3], 2
	s_add_u32 s69, s38, s2
	s_mul_i32 s4, s28, 5
	s_addc_u32 s2, s39, s3
	v_writelane_b32 v41, s2, 14
	s_mul_hi_i32 s3, s4, s6
	s_mul_i32 s2, s4, s6
	s_lshl_b64 s[2:3], s[2:3], 2
	v_readlane_b32 s8, v41, 4
	s_add_u32 s18, s44, s2
	s_mul_hi_i32 s5, s28, s6
	s_mul_i32 s4, s28, s6
	v_readlane_b32 s9, v41, 5
	s_addc_u32 s19, s45, s3
	s_lshl_b64 s[4:5], s[4:5], 2
	s_mov_b64 s[40:41], s[8:9]
	s_add_u32 s20, s46, s4
	s_mul_i32 s7, s40, s7
	s_mul_hi_u32 s8, s40, s6
	s_addc_u32 s21, s47, s5
	s_add_i32 s7, s8, s7
	s_mul_i32 s8, s41, s6
	v_rcp_f32_e32 v6, v3
	s_add_i32 s7, s7, s8
	s_mul_i32 s6, s40, s6
	s_ashr_i32 s5, s36, 31
	s_lshl_b64 s[6:7], s[6:7], 3
	s_mov_b32 s4, s36
	s_add_u32 s6, s42, s6
	s_addc_u32 s7, s43, s7
	s_lshl_b64 s[4:5], s[4:5], 3
	v_fma_f32 v7, -v3, v6, 1.0
	s_add_u32 s36, s6, s4
	s_mul_i32 s6, s28, 3
	v_fmac_f32_e32 v6, v7, v6
	s_mov_b32 s4, s6
	v_mul_f32_e32 v7, v4, v6
	v_readlane_b32 s10, v41, 6
	v_readlane_b32 s11, v41, 7
	;; [unrolled: 1-line block ×6, first 2 shown]
	s_addc_u32 s58, s7, s5
	s_ashr_i32 s7, s6, 31
	v_writelane_b32 v41, s4, 15
	v_fma_f32 v8, -v3, v7, v4
	v_writelane_b32 v41, s5, 16
	s_lshl_b64 s[4:5], s[6:7], 2
	v_fmac_f32_e32 v7, v8, v6
	s_add_u32 s38, s18, s4
	v_fma_f32 v3, -v3, v7, v4
	v_div_fmas_f32 v3, v3, v6, v7
	s_addc_u32 s39, s19, s5
	s_lshl_b64 s[6:7], s[28:29], 3
	s_sub_u32 s59, 0, s6
	s_subb_u32 s22, 0, s7
	s_add_u32 s40, s38, s59
	s_addc_u32 s41, s39, s22
	s_lshl_b64 s[8:9], s[28:29], 2
	s_add_u32 s42, s40, s8
	s_addc_u32 s43, s41, s9
	s_add_u32 s46, s42, s6
	s_addc_u32 s47, s43, s7
	s_and_b64 s[54:55], s[0:1], s[16:17]
	s_add_u32 s7, s82, 4
	v_writelane_b32 v41, s7, 17
	v_writelane_b32 v41, s23, 18
	s_addc_u32 s7, s23, 0
	v_writelane_b32 v41, s7, 19
	s_add_u32 s7, s26, 4
	v_writelane_b32 v41, s7, 20
	s_addc_u32 s7, s49, 0
	s_add_u32 s2, s2, s4
	v_max_f32_e64 v4, s52, s52
	s_addc_u32 s3, s3, s5
	v_max_f32_e32 v21, 0, v4
	v_div_fixup_f32 v23, v3, s53, 1.0
	v_mov_b32_e32 v4, s19
	v_add_co_u32_e32 v3, vcc, s18, v5
	s_add_u32 s2, s44, s2
	v_add_u32_e32 v7, s28, v0
	v_addc_co_u32_e32 v4, vcc, 0, v4, vcc
	s_addc_u32 s3, s45, s3
	v_ashrrev_i32_e32 v8, 31, v7
	v_add_u32_e32 v22, 8, v5
	v_mov_b32_e32 v6, s3
	v_add_co_u32_e32 v5, vcc, s2, v5
	v_lshlrev_b64 v[7:8], 2, v[7:8]
	v_addc_co_u32_e32 v6, vcc, 0, v6, vcc
	s_lshl_b32 s29, s28, 1
	v_writelane_b32 v41, s7, 21
	v_mov_b32_e32 v9, s19
	v_add_co_u32_e32 v7, vcc, s18, v7
	s_add_u32 s44, s2, 8
	v_addc_co_u32_e32 v8, vcc, v9, v8, vcc
	s_addc_u32 s45, s3, 0
	v_writelane_b32 v41, s26, 22
	s_movk_i32 s6, 0x80
	v_add_co_u32_e32 v7, vcc, 4, v7
	s_add_u32 s56, s18, 4
	s_mov_b32 s60, 0xff800000
	v_writelane_b32 v41, s49, 23
	v_addc_co_u32_e32 v8, vcc, 0, v8, vcc
	s_addc_u32 s57, s19, 0
	v_mov_b32_e32 v24, 0x260
	v_mov_b32_e32 v25, 1.0
	s_mov_b32 s61, 0x41dfffff
	v_mov_b32_e32 v26, 1
	v_mov_b32_e32 v27, 8
	v_cmp_gt_u32_e64 s[2:3], s6, v0
	s_brev_b32 s23, -2
	s_mov_b32 s30, 0x41200000
	s_movk_i32 s31, 0x400
	s_mov_b32 s35, 0
	v_cmp_gt_u32_e64 s[4:5], 64, v0
	v_cmp_gt_i32_e64 s[6:7], s28, v0
	s_mov_b32 s62, s27
	v_writelane_b32 v41, s82, 24
                                        ; implicit-def: $vgpr28
                                        ; implicit-def: $vgpr30
                                        ; implicit-def: $vgpr31
                                        ; implicit-def: $vgpr29
                                        ; implicit-def: $sgpr65
	v_writelane_b32 v41, s69, 25
	s_branch .LBB3_12
.LBB3_10:                               ;   in Loop: Header=BB3_12 Depth=1
	v_readlane_b32 s8, v41, 12
	v_readlane_b32 s9, v41, 13
	s_mov_b32 s35, s16
	v_readlane_b32 s26, v41, 22
	v_readlane_b32 s49, v41, 23
	;; [unrolled: 1-line block ×4, first 2 shown]
	global_load_dword v1, v2, s[8:9] offset:-4
.LBB3_11:                               ;   in Loop: Header=BB3_12 Depth=1
	s_add_i32 s62, s62, 1
	s_waitcnt vmcnt(0)
	v_cmp_ge_i32_e32 vcc, s62, v1
	s_cbranch_vccnz .LBB3_242
.LBB3_12:                               ; =>This Loop Header: Depth=1
                                        ;     Child Loop BB3_17 Depth 2
                                        ;     Child Loop BB3_21 Depth 2
                                        ;       Child Loop BB3_31 Depth 3
                                        ;       Child Loop BB3_34 Depth 3
	;; [unrolled: 1-line block ×5, first 2 shown]
                                        ;         Child Loop BB3_103 Depth 4
                                        ;         Child Loop BB3_106 Depth 4
	;; [unrolled: 1-line block ×4, first 2 shown]
                                        ;           Child Loop BB3_122 Depth 5
                                        ;         Child Loop BB3_136 Depth 4
                                        ;           Child Loop BB3_137 Depth 5
                                        ;           Child Loop BB3_139 Depth 5
                                        ;         Child Loop BB3_144 Depth 4
                                        ;       Child Loop BB3_185 Depth 3
                                        ;       Child Loop BB3_222 Depth 3
	;; [unrolled: 1-line block ×4, first 2 shown]
	s_mov_b32 s64, 0
	s_cmp_eq_u32 s62, 0
	s_mov_b64 s[8:9], 0
	v_readlane_b32 s10, v41, 14
	s_cbranch_scc1 .LBB3_14
; %bb.13:                               ;   in Loop: Header=BB3_12 Depth=1
	s_mov_b32 s63, s27
	s_lshl_b64 s[8:9], s[62:63], 2
	s_add_u32 s8, s69, s8
	s_addc_u32 s9, s10, s9
	global_load_dword v9, v2, s[8:9] offset:-4
	s_mov_b64 s[8:9], s[62:63]
	s_waitcnt vmcnt(0)
	v_readfirstlane_b32 s64, v9
.LBB3_14:                               ;   in Loop: Header=BB3_12 Depth=1
	s_lshl_b64 s[8:9], s[8:9], 2
	s_add_u32 s8, s69, s8
	s_addc_u32 s9, s10, s9
	global_load_dword v9, v2, s[8:9]
	s_not_b32 s8, s64
	s_waitcnt vmcnt(0)
	v_readfirstlane_b32 s66, v9
	s_add_i32 s68, s8, s66
	s_sub_i32 s63, s66, s64
	s_cmp_lt_i32 s68, 1
	s_cselect_b64 s[70:71], -1, 0
	s_and_b64 vcc, exec, s[70:71]
	s_cbranch_vccnz .LBB3_19
; %bb.15:                               ;   in Loop: Header=BB3_12 Depth=1
	s_ashr_i32 s65, s64, 31
	s_lshl_b64 s[10:11], s[64:65], 2
	s_add_u32 s8, s26, s10
	s_addc_u32 s9, s49, s11
	s_add_u32 s14, s82, s10
	v_readlane_b32 s13, v41, 18
	s_addc_u32 s15, s13, s11
	s_ashr_i32 s67, s66, 31
	s_lshl_b64 s[16:17], s[66:67], 2
	s_add_u32 s50, s26, s16
	s_addc_u32 s51, s49, s17
	s_add_i32 s12, s66, -2
	s_add_u32 s16, s82, s16
	s_addc_u32 s17, s13, s17
	global_load_dword v10, v2, s[8:9]
	global_load_dword v9, v2, s[14:15]
	global_load_dword v11, v2, s[50:51] offset:-4
	global_load_dword v12, v2, s[16:17] offset:-8
	s_cmp_ge_i32 s64, s12
	s_waitcnt vmcnt(2)
	v_add_f32_e64 v10, |v10|, |v9|
	s_waitcnt vmcnt(0)
	v_add_f32_e64 v11, |v11|, |v12|
	v_cmp_lt_f32_e32 vcc, v10, v11
	v_cndmask_b32_e32 v29, v10, v11, vcc
	s_cbranch_scc1 .LBB3_18
; %bb.16:                               ;   in Loop: Header=BB3_12 Depth=1
	v_readlane_b32 s8, v41, 17
	s_add_u32 s8, s8, s10
	v_readlane_b32 s9, v41, 19
	s_addc_u32 s9, s9, s11
	v_readlane_b32 s13, v41, 20
	s_add_u32 s10, s13, s10
	v_readlane_b32 s13, v41, 21
	s_addc_u32 s11, s13, s11
	s_mov_b32 s13, s64
.LBB3_17:                               ;   Parent Loop BB3_12 Depth=1
                                        ; =>  This Inner Loop Header: Depth=2
	global_load_dword v10, v2, s[10:11]
	s_add_i32 s13, s13, 1
	s_waitcnt vmcnt(0)
	v_add_f32_e64 v10, |v9|, |v10|
	global_load_dword v9, v2, s[8:9]
	s_add_u32 s8, s8, 4
	s_addc_u32 s9, s9, 0
	s_add_u32 s10, s10, 4
	s_addc_u32 s11, s11, 0
	s_cmp_lt_i32 s13, s12
	s_waitcnt vmcnt(0)
	v_add_f32_e64 v10, v10, |v9|
	v_cmp_lt_f32_e32 vcc, v29, v10
	v_cndmask_b32_e32 v29, v29, v10, vcc
	s_cbranch_scc1 .LBB3_17
.LBB3_18:                               ;   in Loop: Header=BB3_12 Depth=1
	v_cvt_f64_u32_e32 v[9:10], s63
	s_mov_b32 s10, 0x9999999a
	s_mov_b32 s11, 0x3fb99999
	v_mul_f32_e32 v31, 0x3a83126f, v29
	v_div_scale_f64 v[11:12], s[8:9], v[9:10], v[9:10], s[10:11]
	s_mov_b32 s8, 0
	s_brev_b32 s9, 8
	s_mov_b32 s65, s35
	v_rcp_f64_e32 v[13:14], v[11:12]
	v_fma_f64 v[15:16], -v[11:12], v[13:14], 1.0
	v_fma_f64 v[13:14], v[13:14], v[15:16], v[13:14]
	v_div_scale_f64 v[15:16], vcc, s[10:11], v[9:10], s[10:11]
	v_fma_f64 v[17:18], -v[11:12], v[13:14], 1.0
	v_fma_f64 v[13:14], v[13:14], v[17:18], v[13:14]
	v_mul_f64 v[17:18], v[15:16], v[13:14]
	v_fma_f64 v[11:12], -v[11:12], v[17:18], v[15:16]
	v_div_fmas_f64 v[11:12], v[11:12], v[13:14], v[17:18]
	v_div_fixup_f64 v[9:10], v[11:12], v[9:10], s[10:11]
	v_cmp_gt_f64_e32 vcc, s[8:9], v[9:10]
	s_and_b64 s[8:9], vcc, exec
	s_cselect_b32 s8, 0x100, 0
	v_ldexp_f64 v[9:10], v[9:10], s8
	s_cselect_b32 s8, 0xffffff80, 0
	v_rsq_f64_e32 v[11:12], v[9:10]
	v_cmp_class_f64_e32 vcc, v[9:10], v24
	v_mul_f64 v[13:14], v[9:10], v[11:12]
	v_mul_f64 v[11:12], v[11:12], 0.5
	v_fma_f64 v[15:16], -v[11:12], v[13:14], 0.5
	v_fma_f64 v[13:14], v[13:14], v[15:16], v[13:14]
	v_fma_f64 v[11:12], v[11:12], v[15:16], v[11:12]
	v_fma_f64 v[15:16], -v[13:14], v[13:14], v[9:10]
	v_fma_f64 v[13:14], v[15:16], v[11:12], v[13:14]
	v_fma_f64 v[15:16], -v[13:14], v[13:14], v[9:10]
	v_fma_f64 v[11:12], v[15:16], v[11:12], v[13:14]
	v_ldexp_f64 v[11:12], v[11:12], s8
	v_cndmask_b32_e32 v10, v12, v10, vcc
	v_cndmask_b32_e32 v9, v11, v9, vcc
	v_cvt_f32_f64_e32 v30, v[9:10]
.LBB3_19:                               ;   in Loop: Header=BB3_12 Depth=1
	s_cmp_ge_i32 s35, s48
	s_cbranch_scc1 .LBB3_11
; %bb.20:                               ;   in Loop: Header=BB3_12 Depth=1
	s_ashr_i32 s67, s66, 31
	s_lshl_b64 s[12:13], s[66:67], 2
	s_add_u32 s72, s26, s12
	s_addc_u32 s73, s49, s13
	v_readlane_b32 s12, v41, 15
	v_readlane_b32 s13, v41, 16
	s_add_i32 s12, s68, s12
	s_ashr_i32 s13, s12, 31
	s_lshl_b64 s[12:13], s[12:13], 2
	s_add_u32 s74, s18, s12
	s_mov_b32 s69, s27
	v_cvt_f32_u32_e32 v1, s63
	v_add_u32_e32 v9, s64, v0
	s_addc_u32 s75, s19, s13
	s_lshl_b64 s[12:13], s[68:69], 2
	v_ashrrev_i32_e32 v10, 31, v9
	s_add_u32 s76, s20, s12
	v_lshlrev_b64 v[11:12], 2, v[9:10]
	s_addc_u32 s77, s21, s13
	s_add_i32 s67, s68, -1
	s_add_u32 s78, s38, s12
	v_mul_f32_e32 v32, v29, v1
	v_mov_b32_e32 v1, s49
	v_add_co_u32_e32 v9, vcc, s26, v11
	s_addc_u32 s79, s39, s13
	v_addc_co_u32_e32 v10, vcc, v1, v12, vcc
	v_readlane_b32 s14, v41, 18
	s_cmp_gt_u32 s63, 2
	v_mov_b32_e32 v1, s14
	v_add_co_u32_e32 v11, vcc, s82, v11
	v_cmp_ge_i32_e64 s[8:9], s68, v0
	v_cmp_gt_i32_e64 s[10:11], s68, v0
	v_cmp_gt_u32_e64 s[12:13], s63, v0
	s_cselect_b64 s[80:81], -1, 0
	v_addc_co_u32_e32 v12, vcc, v1, v12, vcc
	s_mov_b32 s49, 0
	s_sub_i32 s69, 0, s64
	s_mul_i32 s50, s37, s35
	v_mov_b32_e32 v1, v28
	s_mov_b32 s82, s35
.LBB3_21:                               ;   Parent Loop BB3_12 Depth=1
                                        ; =>  This Loop Header: Depth=2
                                        ;       Child Loop BB3_31 Depth 3
                                        ;       Child Loop BB3_34 Depth 3
	;; [unrolled: 1-line block ×5, first 2 shown]
                                        ;         Child Loop BB3_103 Depth 4
                                        ;         Child Loop BB3_106 Depth 4
	;; [unrolled: 1-line block ×4, first 2 shown]
                                        ;           Child Loop BB3_122 Depth 5
                                        ;         Child Loop BB3_136 Depth 4
                                        ;           Child Loop BB3_137 Depth 5
                                        ;           Child Loop BB3_139 Depth 5
                                        ;         Child Loop BB3_144 Depth 4
                                        ;       Child Loop BB3_185 Depth 3
                                        ;       Child Loop BB3_222 Depth 3
	;; [unrolled: 1-line block ×4, first 2 shown]
	s_ashr_i32 s83, s82, 31
	s_lshl_b64 s[16:17], s[82:83], 2
	s_add_u32 s14, s33, s16
	s_addc_u32 s15, s34, s17
	global_load_dword v13, v2, s[14:15]
	s_mov_b64 s[14:15], -1
	s_waitcnt vmcnt(0)
	v_add_u32_e32 v13, -1, v13
	v_cmp_ne_u32_e32 vcc, s62, v13
	s_cbranch_vccnz .LBB3_25
; %bb.22:                               ;   in Loop: Header=BB3_21 Depth=2
	s_add_u32 s14, s24, s16
	s_addc_u32 s15, s25, s17
	global_load_dword v28, v2, s[14:15]
	s_mov_b64 s[14:15], -1
	s_and_b64 vcc, exec, s[70:71]
	s_cbranch_vccnz .LBB3_26
; %bb.23:                               ;   in Loop: Header=BB3_21 Depth=2
	s_and_b64 vcc, exec, s[14:15]
	s_cbranch_vccnz .LBB3_29
.LBB3_24:                               ;   in Loop: Header=BB3_21 Depth=2
	s_and_saveexec_b64 s[16:17], s[6:7]
	s_cbranch_execnz .LBB3_236
	s_branch .LBB3_240
.LBB3_25:                               ;   in Loop: Header=BB3_21 Depth=2
	s_mov_b32 s16, s82
	v_mov_b32_e32 v28, v1
                                        ; implicit-def: $sgpr49
                                        ; implicit-def: $sgpr50
	s_and_b64 vcc, exec, s[14:15]
	s_cbranch_vccz .LBB3_241
	s_branch .LBB3_10
.LBB3_26:                               ;   in Loop: Header=BB3_21 Depth=2
	s_and_saveexec_b64 s[14:15], s[0:1]
	s_cbranch_execz .LBB3_28
; %bb.27:                               ;   in Loop: Header=BB3_21 Depth=2
	global_store_dword v2, v25, s[18:19]
.LBB3_28:                               ;   in Loop: Header=BB3_21 Depth=2
	s_or_b64 exec, exec, s[14:15]
	s_waitcnt vmcnt(0)
	s_barrier
	s_branch .LBB3_24
.LBB3_29:                               ;   in Loop: Header=BB3_21 Depth=2
	s_and_saveexec_b64 s[14:15], s[8:9]
	s_cbranch_execz .LBB3_32
; %bb.30:                               ;   in Loop: Header=BB3_21 Depth=2
	s_mul_i32 s16, s62, s48
	s_add_i32 s16, s82, s16
	v_lshl_or_b32 v13, s16, 8, v0
	v_add_u32_e32 v14, 1, v13
	s_mov_b32 s16, 0x40000001
	v_mul_hi_i32 v15, v14, s16
	v_sub_u32_e32 v16, 0x7ffffffe, v13
	v_sub_u32_e32 v17, 0xf7, v13
	s_mov_b32 s16, 0x7fffff07
	v_lshrrev_b32_e32 v18, 31, v15
	v_ashrrev_i32_e32 v15, 29, v15
	v_add_u32_e32 v15, v15, v18
	v_mul_lo_u32 v15, v15, s23
	v_max_u32_e32 v17, 1, v17
	v_cmp_gt_u32_e32 vcc, s16, v16
	s_mov_b32 s16, 0x7ffffffe
	v_cndmask_b32_e32 v16, v17, v16, vcc
	v_cmp_ne_u32_e32 vcc, s16, v13
	v_sub_u32_e32 v13, v14, v15
	v_max_i32_e32 v17, 1, v13
	v_mov_b32_e32 v14, v4
	v_cndmask_b32_e32 v16, 1, v16, vcc
	s_mov_b64 s[16:17], 0
	v_mov_b32_e32 v13, v3
	v_mov_b32_e32 v15, v0
.LBB3_31:                               ;   Parent Loop BB3_12 Depth=1
                                        ;     Parent Loop BB3_21 Depth=2
                                        ; =>    This Inner Loop Header: Depth=3
	s_mov_b32 s26, 0x5e4789c9
	s_mov_b32 s51, 0x4f7a09cd
	v_mul_hi_i32 v18, v17, s26
	v_mul_hi_i32 v19, v16, s51
	s_mov_b32 s83, 0xbc8f
	s_mov_b32 s84, 0x9ef4
	v_lshrrev_b32_e32 v20, 31, v18
	v_ashrrev_i32_e32 v18, 14, v18
	v_lshrrev_b32_e32 v33, 31, v19
	v_ashrrev_i32_e32 v19, 14, v19
	v_add_u32_e32 v18, v18, v20
	v_add_u32_e32 v19, v19, v33
	v_mul_i32_i24_e32 v20, 0xadc8, v18
	v_mul_i32_i24_e32 v33, 0xce26, v19
	v_sub_u32_e32 v17, v17, v20
	v_sub_u32_e32 v16, v16, v33
	v_mul_lo_u32 v17, v17, s83
	v_mul_lo_u32 v16, v16, s84
	s_movk_i32 s85, 0xf2b9
	s_movk_i32 s86, 0xf131
	v_mad_i32_i24 v17, v18, s85, v17
	v_mad_i32_i24 v16, v19, s86, v16
	v_ashrrev_i32_e32 v18, 31, v17
	v_ashrrev_i32_e32 v19, 31, v16
	v_and_b32_e32 v18, 0x7fffffff, v18
	v_and_b32_e32 v19, 0x7fffff07, v19
	v_add_u32_e32 v17, v18, v17
	v_add_u32_e32 v16, v19, v16
	v_sub_u32_e32 v18, v17, v16
	v_ashrrev_i32_e32 v19, 31, v18
	v_and_b32_e32 v19, 0x7fffffff, v19
	v_add_u32_e32 v18, v19, v18
	v_cvt_f64_i32_e32 v[18:19], v18
	v_add_u32_e32 v15, 0x100, v15
	v_div_scale_f64 v[33:34], s[84:85], s[60:61], s[60:61], v[18:19]
	v_rcp_f64_e32 v[35:36], v[33:34]
	v_fma_f64 v[37:38], -v[33:34], v[35:36], 1.0
	v_fma_f64 v[35:36], v[35:36], v[37:38], v[35:36]
	v_div_scale_f64 v[37:38], vcc, v[18:19], s[60:61], v[18:19]
	v_fma_f64 v[39:40], -v[33:34], v[35:36], 1.0
	v_fma_f64 v[35:36], v[35:36], v[39:40], v[35:36]
	v_mul_f64 v[39:40], v[37:38], v[35:36]
	v_fma_f64 v[33:34], -v[33:34], v[39:40], v[37:38]
	v_div_fmas_f64 v[33:34], v[33:34], v[35:36], v[39:40]
	v_cmp_lt_i32_e32 vcc, s68, v15
	s_or_b64 s[16:17], vcc, s[16:17]
	v_div_fixup_f64 v[18:19], v[33:34], s[60:61], v[18:19]
	v_cvt_f32_f64_e32 v18, v[18:19]
	global_store_dword v[13:14], v18, off
	v_add_co_u32_e32 v13, vcc, 0x400, v13
	v_addc_co_u32_e32 v14, vcc, 0, v14, vcc
	s_andn2_b64 exec, exec, s[16:17]
	s_cbranch_execnz .LBB3_31
.LBB3_32:                               ;   in Loop: Header=BB3_21 Depth=2
	s_or_b64 exec, exec, s[14:15]
	s_and_saveexec_b64 s[84:85], s[10:11]
	s_cbranch_execz .LBB3_35
; %bb.33:                               ;   in Loop: Header=BB3_21 Depth=2
	v_mov_b32_e32 v14, v12
	v_mov_b32_e32 v16, v10
	;; [unrolled: 1-line block ×4, first 2 shown]
	s_mov_b64 s[86:87], 0
	v_mov_b32_e32 v13, v11
	v_mov_b32_e32 v15, v9
	;; [unrolled: 1-line block ×5, first 2 shown]
.LBB3_34:                               ;   Parent Loop BB3_12 Depth=1
                                        ;     Parent Loop BB3_21 Depth=2
                                        ; =>    This Inner Loop Header: Depth=3
	global_load_dword v34, v[15:16], off
	v_mov_b32_e32 v37, s19
	s_waitcnt vmcnt(0)
	global_store_dword v[19:20], v34, off
	global_load_dword v36, v[13:14], off
	v_add_u32_e32 v34, s29, v33
	v_ashrrev_i32_e32 v35, 31, v34
	v_add_u32_e32 v33, 0x100, v33
	v_lshlrev_b64 v[34:35], 2, v[34:35]
	v_cmp_le_i32_e32 vcc, s68, v33
	s_or_b64 s[86:87], vcc, s[86:87]
	v_add_co_u32_e32 v34, vcc, s18, v34
	v_addc_co_u32_e32 v35, vcc, v37, v35, vcc
	v_add_co_u32_e32 v19, vcc, s31, v19
	v_addc_co_u32_e32 v20, vcc, 0, v20, vcc
	s_waitcnt vmcnt(0)
	global_store_dword v[34:35], v36, off
	global_store_dword v[17:18], v36, off
	v_add_co_u32_e32 v17, vcc, s31, v17
	s_mov_b64 s[14:15], vcc
	v_add_co_u32_e32 v15, vcc, 0x400, v15
	s_mov_b64 s[16:17], vcc
	v_addc_co_u32_e64 v18, vcc, 0, v18, s[14:15]
	v_add_co_u32_e32 v13, vcc, 0x400, v13
	v_addc_co_u32_e64 v16, s[14:15], 0, v16, s[16:17]
	v_addc_co_u32_e32 v14, vcc, 0, v14, vcc
	s_andn2_b64 exec, exec, s[86:87]
	s_cbranch_execnz .LBB3_34
.LBB3_35:                               ;   in Loop: Header=BB3_21 Depth=2
	s_or_b64 exec, exec, s[84:85]
	s_and_saveexec_b64 s[14:15], s[0:1]
	s_cbranch_execz .LBB3_37
; %bb.36:                               ;   in Loop: Header=BB3_21 Depth=2
	global_load_dword v13, v2, s[72:73] offset:-4
	s_waitcnt vmcnt(0)
	global_store_dword v2, v13, s[74:75]
.LBB3_37:                               ;   in Loop: Header=BB3_21 Depth=2
	s_or_b64 exec, exec, s[14:15]
	s_waitcnt vmcnt(0)
	v_mul_f32_e32 v13, s52, v28
	s_cmp_lg_u32 s49, 0
	v_mul_f32_e64 v14, |v13|, s30
	v_sub_f32_e32 v15, v28, v1
	s_cselect_b64 s[84:85], -1, 0
	s_cmp_eq_u32 s49, 0
	v_fma_f32 v13, |v13|, s30, v1
	v_cmp_lt_f32_e32 vcc, v15, v14
	v_cndmask_b32_e32 v13, v28, v13, vcc
	s_cselect_b64 vcc, -1, 0
	v_cndmask_b32_e32 v28, v13, v28, vcc
	s_barrier
	s_and_saveexec_b64 s[14:15], s[0:1]
	s_cbranch_execz .LBB3_64
; %bb.38:                               ;   in Loop: Header=BB3_21 Depth=2
	global_load_dword v13, v2, s[38:39]
	s_mov_b64 s[16:17], 0
	s_mov_b32 s26, 1
	global_store_dword v2, v2, s[76:77]
	s_waitcnt vmcnt(1)
	v_sub_f32_e32 v13, v13, v28
	global_store_dword v2, v13, s[38:39]
	global_load_dword v14, v2, s[40:41] offset:4
	s_waitcnt vmcnt(0)
	v_add_f32_e64 v13, |v13|, |v14|
	s_branch .LBB3_40
.LBB3_39:                               ;   in Loop: Header=BB3_40 Depth=3
	s_add_u32 s16, s16, 4
	s_addc_u32 s17, s17, 0
	s_add_i32 s26, s26, 1
	s_cmp_eq_u32 s63, s26
	s_cbranch_scc1 .LBB3_61
.LBB3_40:                               ;   Parent Loop BB3_12 Depth=1
                                        ;     Parent Loop BB3_21 Depth=2
                                        ; =>    This Inner Loop Header: Depth=3
	s_add_i32 s51, s26, -1
	s_add_u32 s90, s38, s16
	s_addc_u32 s91, s39, s17
	global_load_dword v14, v2, s[90:91] offset:4
	s_add_u32 s88, s42, s16
	s_addc_u32 s89, s43, s17
	s_cmp_lt_u32 s51, s67
	s_cselect_b64 s[86:87], -1, 0
	s_cmp_ge_u32 s51, s67
	s_waitcnt vmcnt(0)
	v_sub_f32_e32 v16, v14, v28
	global_store_dword v2, v16, s[90:91] offset:4
	global_load_dword v17, v2, s[88:89]
	s_waitcnt vmcnt(0)
	v_add_f32_e64 v14, |v16|, |v17|
	s_cbranch_scc1 .LBB3_42
; %bb.41:                               ;   in Loop: Header=BB3_40 Depth=3
	s_add_u32 s92, s40, s16
	s_addc_u32 s93, s41, s17
	global_load_dword v15, v2, s[92:93] offset:8
	s_waitcnt vmcnt(0)
	v_add_f32_e64 v14, v14, |v15|
.LBB3_42:                               ;   in Loop: Header=BB3_40 Depth=3
	global_load_dword v18, v2, s[90:91]
	s_waitcnt vmcnt(0)
	v_cmp_eq_f32_e32 vcc, 0, v18
	s_cbranch_vccnz .LBB3_53
; %bb.43:                               ;   in Loop: Header=BB3_40 Depth=3
	v_and_b32_e32 v15, 0x7fffffff, v18
	v_div_scale_f32 v19, s[92:93], v13, v13, v15
	v_div_scale_f32 v15, vcc, v15, v13, v15
	v_rcp_f32_e32 v20, v19
	v_fma_f32 v33, -v19, v20, 1.0
	v_fmac_f32_e32 v20, v33, v20
	v_mul_f32_e32 v33, v15, v20
	v_fma_f32 v34, -v19, v33, v15
	v_fmac_f32_e32 v33, v34, v20
	v_fma_f32 v15, -v19, v33, v15
	v_div_fmas_f32 v15, v15, v20, v33
	v_div_fixup_f32 v15, v15, v13, |v18|
	v_cmp_neq_f32_e32 vcc, 0, v17
	s_cbranch_vccz .LBB3_54
.LBB3_44:                               ;   in Loop: Header=BB3_40 Depth=3
	v_and_b32_e32 v19, 0x7fffffff, v17
	v_div_scale_f32 v20, s[92:93], v14, v14, v19
	v_div_scale_f32 v19, vcc, v19, v14, v19
	s_add_u32 s92, s20, s16
	s_addc_u32 s93, s21, s17
	s_mov_b64 s[94:95], -1
	v_rcp_f32_e32 v33, v20
	v_fma_f32 v34, -v20, v33, 1.0
	v_fmac_f32_e32 v33, v34, v33
	v_mul_f32_e32 v34, v19, v33
	v_fma_f32 v35, -v20, v34, v19
	v_fmac_f32_e32 v34, v35, v33
	v_fma_f32 v19, -v20, v34, v19
	v_div_fmas_f32 v19, v19, v33, v34
	v_div_fixup_f32 v19, v19, v14, |v17|
	v_cmp_nle_f32_e32 vcc, v19, v15
	s_cbranch_vccnz .LBB3_48
; %bb.45:                               ;   in Loop: Header=BB3_40 Depth=3
	v_div_scale_f32 v20, s[94:95], v18, v18, v17
	v_div_scale_f32 v33, vcc, v17, v18, v17
	s_add_u32 s94, s40, s16
	s_addc_u32 s95, s41, s17
	v_rcp_f32_e32 v34, v20
	v_fma_f32 v35, -v20, v34, 1.0
	v_fmac_f32_e32 v34, v35, v34
	v_mul_f32_e32 v35, v33, v34
	v_fma_f32 v36, -v20, v35, v33
	v_fmac_f32_e32 v35, v36, v34
	v_fma_f32 v20, -v20, v35, v33
	v_div_fmas_f32 v20, v20, v34, v35
	s_andn2_b64 vcc, exec, s[86:87]
	v_div_fixup_f32 v20, v20, v18, v17
	global_store_dword v2, v20, s[88:89]
	global_load_dword v33, v2, s[90:91] offset:4
	global_load_dword v34, v2, s[94:95] offset:4
	s_waitcnt vmcnt(0)
	v_fma_f32 v20, -v20, v34, v33
	global_store_dword v2, v2, s[92:93]
	global_store_dword v2, v20, s[90:91] offset:4
	s_cbranch_vccnz .LBB3_47
; %bb.46:                               ;   in Loop: Header=BB3_40 Depth=3
	s_add_u32 s94, s46, s16
	s_addc_u32 s95, s47, s17
	global_store_dword v2, v2, s[94:95]
.LBB3_47:                               ;   in Loop: Header=BB3_40 Depth=3
	s_mov_b64 s[94:95], 0
.LBB3_48:                               ;   in Loop: Header=BB3_40 Depth=3
	s_andn2_b64 vcc, exec, s[94:95]
	v_mov_b32_e32 v20, v14
	s_cbranch_vccnz .LBB3_52
; %bb.49:                               ;   in Loop: Header=BB3_40 Depth=3
	s_add_u32 s94, s40, s16
	global_store_dword v2, v17, s[90:91]
	s_addc_u32 s95, s41, s17
	global_load_dword v20, v2, s[94:95] offset:4
	v_div_scale_f32 v33, vcc, v17, v17, v18
	v_div_scale_f32 v34, vcc, v18, v17, v18
	global_store_dword v2, v26, s[92:93]
	v_rcp_f32_e32 v35, v33
	v_fma_f32 v36, -v33, v35, 1.0
	v_fmac_f32_e32 v35, v36, v35
	v_mul_f32_e32 v36, v34, v35
	v_fma_f32 v37, -v33, v36, v34
	v_fmac_f32_e32 v36, v37, v35
	v_fma_f32 v33, -v33, v36, v34
	v_div_fmas_f32 v33, v33, v35, v36
	s_andn2_b64 vcc, exec, s[86:87]
	v_div_fixup_f32 v17, v33, v17, v18
	s_waitcnt vmcnt(1)
	v_fma_f32 v18, -v16, v17, v20
	global_store_dword v2, v18, s[90:91] offset:4
	s_cbranch_vccnz .LBB3_51
; %bb.50:                               ;   in Loop: Header=BB3_40 Depth=3
	global_load_dword v18, v2, s[94:95] offset:8
	s_add_u32 s90, s46, s16
	s_addc_u32 s91, s47, s17
	s_waitcnt vmcnt(0)
	global_store_dword v2, v18, s[90:91]
	v_mul_f32_e64 v18, v18, -v17
	global_store_dword v2, v18, s[94:95] offset:8
.LBB3_51:                               ;   in Loop: Header=BB3_40 Depth=3
	v_mov_b32_e32 v20, v13
	global_store_dword v2, v16, s[94:95] offset:4
	global_store_dword v2, v17, s[88:89]
.LBB3_52:                               ;   in Loop: Header=BB3_40 Depth=3
	v_mov_b32_e32 v13, v20
	s_cbranch_execz .LBB3_55
	s_branch .LBB3_58
.LBB3_53:                               ;   in Loop: Header=BB3_40 Depth=3
	v_mov_b32_e32 v15, 0
	v_cmp_neq_f32_e32 vcc, 0, v17
	s_cbranch_vccnz .LBB3_44
.LBB3_54:                               ;   in Loop: Header=BB3_40 Depth=3
                                        ; implicit-def: $vgpr19
                                        ; implicit-def: $vgpr13
.LBB3_55:                               ;   in Loop: Header=BB3_40 Depth=3
	s_add_u32 s88, s20, s16
	s_addc_u32 s89, s21, s17
	s_andn2_b64 vcc, exec, s[86:87]
	global_store_dword v2, v2, s[88:89]
	s_cbranch_vccnz .LBB3_57
; %bb.56:                               ;   in Loop: Header=BB3_40 Depth=3
	s_add_u32 s86, s46, s16
	s_addc_u32 s87, s47, s17
	global_store_dword v2, v2, s[86:87]
.LBB3_57:                               ;   in Loop: Header=BB3_40 Depth=3
	v_mov_b32_e32 v19, 0
	v_mov_b32_e32 v13, v14
.LBB3_58:                               ;   in Loop: Header=BB3_40 Depth=3
	v_max_f32_e32 v14, v19, v19
	v_max_f32_e32 v15, v15, v15
	;; [unrolled: 1-line block ×3, first 2 shown]
	v_cmp_nle_f32_e32 vcc, v14, v21
	s_cbranch_vccnz .LBB3_39
; %bb.59:                               ;   in Loop: Header=BB3_40 Depth=3
	global_load_dword v14, v2, s[76:77]
	s_waitcnt vmcnt(0)
	v_cmp_ne_u32_e32 vcc, 0, v14
	s_cbranch_vccnz .LBB3_39
; %bb.60:                               ;   in Loop: Header=BB3_40 Depth=3
	v_mov_b32_e32 v14, s26
	global_store_dword v2, v14, s[76:77]
	s_branch .LBB3_39
.LBB3_61:                               ;   in Loop: Header=BB3_21 Depth=2
	global_load_dword v14, v2, s[78:79]
	v_mul_f32_e32 v13, v21, v13
	s_waitcnt vmcnt(0)
	v_cmp_le_f32_e64 s[16:17], |v14|, v13
	s_and_b64 vcc, exec, s[16:17]
	s_cbranch_vccz .LBB3_64
; %bb.62:                               ;   in Loop: Header=BB3_21 Depth=2
	global_load_dword v13, v2, s[76:77]
	s_waitcnt vmcnt(0)
	v_cmp_ne_u32_e32 vcc, 0, v13
	s_cbranch_vccnz .LBB3_64
; %bb.63:                               ;   in Loop: Header=BB3_21 Depth=2
	v_mov_b32_e32 v13, s63
	global_store_dword v2, v13, s[76:77]
.LBB3_64:                               ;   in Loop: Header=BB3_21 Depth=2
	s_or_b64 exec, exec, s[14:15]
	v_sub_f32_e32 v1, v28, v1
	v_cmp_gt_f32_e64 s[86:87], |v1|, v31
	s_mov_b32 s51, 0
	s_mov_b32 s83, 0
	v_mov_b32_e32 v1, 0
	v_bfrev_b32_e32 v15, -2
	s_and_saveexec_b64 s[88:89], s[12:13]
	s_cbranch_execz .LBB3_68
.LBB3_65:                               ;   in Loop: Header=BB3_21 Depth=2
	v_mov_b32_e32 v14, v4
	v_mov_b32_e32 v1, 0
	v_bfrev_b32_e32 v15, -2
	s_mov_b64 s[90:91], 0
	v_mov_b32_e32 v13, v3
	v_mov_b32_e32 v16, v0
.LBB3_66:                               ;   Parent Loop BB3_12 Depth=1
                                        ;     Parent Loop BB3_21 Depth=2
                                        ; =>    This Inner Loop Header: Depth=3
	global_load_dword v17, v[13:14], off
	v_add_co_u32_e32 v13, vcc, 0x400, v13
	v_cmp_eq_u32_e64 s[14:15], s23, v15
	v_add_u32_e32 v18, 1, v16
	v_add_u32_e32 v16, 0x100, v16
	v_addc_co_u32_e32 v14, vcc, 0, v14, vcc
	v_cmp_le_u32_e64 s[16:17], s63, v16
	s_waitcnt vmcnt(0)
	v_cmp_lt_f32_e64 s[92:93], v1, |v17|
	s_or_b64 vcc, s[92:93], s[14:15]
	v_cndmask_b32_e64 v1, v1, |v17|, vcc
	s_or_b64 s[90:91], s[16:17], s[90:91]
	v_cndmask_b32_e32 v15, v15, v18, vcc
	s_andn2_b64 exec, exec, s[90:91]
	s_cbranch_execnz .LBB3_66
; %bb.67:                               ;   in Loop: Header=BB3_21 Depth=2
	s_or_b64 exec, exec, s[90:91]
.LBB3_68:                               ;   Parent Loop BB3_12 Depth=1
                                        ;     Parent Loop BB3_21 Depth=2
                                        ; =>    This Loop Header: Depth=3
                                        ;         Child Loop BB3_103 Depth 4
                                        ;         Child Loop BB3_106 Depth 4
                                        ;         Child Loop BB3_109 Depth 4
                                        ;         Child Loop BB3_116 Depth 4
                                        ;           Child Loop BB3_122 Depth 5
                                        ;         Child Loop BB3_136 Depth 4
                                        ;           Child Loop BB3_137 Depth 5
                                        ;           Child Loop BB3_139 Depth 5
                                        ;         Child Loop BB3_144 Depth 4
	s_or_b64 exec, exec, s[88:89]
	ds_write2st64_b32 v22, v1, v15 offset1:8
	s_waitcnt vmcnt(0) lgkmcnt(0)
	s_barrier
	s_and_saveexec_b64 s[16:17], s[2:3]
	s_cbranch_execz .LBB3_74
; %bb.69:                               ;   in Loop: Header=BB3_68 Depth=3
	ds_read2st64_b32 v[13:14], v22 offset0:2 offset1:10
	s_waitcnt lgkmcnt(0)
	v_cmp_lt_f32_e64 s[88:89], v1, v13
	v_cmp_nlt_f32_e32 vcc, v1, v13
	s_and_saveexec_b64 s[90:91], vcc
; %bb.70:                               ;   in Loop: Header=BB3_68 Depth=3
	v_cmp_eq_f32_e32 vcc, v1, v13
	v_cmp_gt_i32_e64 s[14:15], v15, v14
	s_and_b64 s[14:15], vcc, s[14:15]
	s_andn2_b64 s[88:89], s[88:89], exec
	s_and_b64 s[14:15], s[14:15], exec
	s_or_b64 s[88:89], s[88:89], s[14:15]
; %bb.71:                               ;   in Loop: Header=BB3_68 Depth=3
	s_or_b64 exec, exec, s[90:91]
	s_and_saveexec_b64 s[14:15], s[88:89]
; %bb.72:                               ;   in Loop: Header=BB3_68 Depth=3
	v_mov_b32_e32 v15, v14
	v_mov_b32_e32 v1, v13
	ds_write2st64_b32 v22, v13, v14 offset1:8
; %bb.73:                               ;   in Loop: Header=BB3_68 Depth=3
	s_or_b64 exec, exec, s[14:15]
.LBB3_74:                               ;   in Loop: Header=BB3_68 Depth=3
	s_or_b64 exec, exec, s[16:17]
	s_waitcnt lgkmcnt(0)
	s_barrier
	s_and_saveexec_b64 s[88:89], s[4:5]
	s_cbranch_execz .LBB3_101
; %bb.75:                               ;   in Loop: Header=BB3_68 Depth=3
	ds_read2st64_b32 v[13:14], v22 offset0:1 offset1:9
	s_waitcnt lgkmcnt(0)
	v_cmp_lt_f32_e64 s[16:17], v1, v13
	v_cmp_nlt_f32_e32 vcc, v1, v13
	s_and_saveexec_b64 s[90:91], vcc
; %bb.76:                               ;   in Loop: Header=BB3_68 Depth=3
	v_cmp_eq_f32_e32 vcc, v1, v13
	v_cmp_gt_i32_e64 s[14:15], v15, v14
	s_and_b64 s[14:15], vcc, s[14:15]
	s_andn2_b64 s[16:17], s[16:17], exec
	s_and_b64 s[14:15], s[14:15], exec
	s_or_b64 s[16:17], s[16:17], s[14:15]
; %bb.77:                               ;   in Loop: Header=BB3_68 Depth=3
	s_or_b64 exec, exec, s[90:91]
	s_and_saveexec_b64 s[14:15], s[16:17]
; %bb.78:                               ;   in Loop: Header=BB3_68 Depth=3
	v_mov_b32_e32 v1, v13
	v_mov_b32_e32 v15, v14
	ds_write2st64_b32 v22, v13, v14 offset1:8
; %bb.79:                               ;   in Loop: Header=BB3_68 Depth=3
	s_or_b64 exec, exec, s[14:15]
	v_add_u32_e32 v13, 0x80, v22
	ds_read2st64_b32 v[13:14], v13 offset1:8
	s_waitcnt lgkmcnt(0)
	v_cmp_lt_f32_e64 s[16:17], v1, v13
	v_cmp_nlt_f32_e32 vcc, v1, v13
	s_and_saveexec_b64 s[90:91], vcc
; %bb.80:                               ;   in Loop: Header=BB3_68 Depth=3
	v_cmp_eq_f32_e32 vcc, v1, v13
	v_cmp_gt_i32_e64 s[14:15], v15, v14
	s_and_b64 s[14:15], vcc, s[14:15]
	s_andn2_b64 s[16:17], s[16:17], exec
	s_and_b64 s[14:15], s[14:15], exec
	s_or_b64 s[16:17], s[16:17], s[14:15]
; %bb.81:                               ;   in Loop: Header=BB3_68 Depth=3
	s_or_b64 exec, exec, s[90:91]
	s_and_saveexec_b64 s[14:15], s[16:17]
; %bb.82:                               ;   in Loop: Header=BB3_68 Depth=3
	v_mov_b32_e32 v1, v13
	v_mov_b32_e32 v15, v14
	ds_write2st64_b32 v22, v13, v14 offset1:8
; %bb.83:                               ;   in Loop: Header=BB3_68 Depth=3
	s_or_b64 exec, exec, s[14:15]
	v_add_u32_e32 v13, 64, v22
	ds_read2st64_b32 v[13:14], v13 offset1:8
	;; [unrolled: 22-line block ×6, first 2 shown]
	s_waitcnt lgkmcnt(0)
	v_cmp_eq_f32_e64 s[14:15], v1, v13
	v_cmp_gt_i32_e64 s[16:17], v15, v14
	v_cmp_lt_f32_e32 vcc, v1, v13
	s_and_b64 s[14:15], s[14:15], s[16:17]
	s_or_b64 s[14:15], vcc, s[14:15]
	s_and_b64 exec, exec, s[14:15]
; %bb.100:                              ;   in Loop: Header=BB3_68 Depth=3
	ds_write2st64_b32 v22, v13, v14 offset1:8
.LBB3_101:                              ;   in Loop: Header=BB3_68 Depth=3
	s_or_b64 exec, exec, s[88:89]
	s_waitcnt lgkmcnt(0)
	s_barrier
	s_and_saveexec_b64 s[14:15], s[8:9]
	s_cbranch_execz .LBB3_104
; %bb.102:                              ;   in Loop: Header=BB3_68 Depth=3
	global_load_dword v1, v2, s[74:75]
	ds_read_b32 v15, v27
	v_mov_b32_e32 v13, s52
	s_waitcnt vmcnt(0)
	v_cmp_lt_f32_e64 s[16:17], s52, |v1|
	v_cndmask_b32_e64 v1, v13, |v1|, s[16:17]
	v_mul_f32_e32 v1, v32, v1
	s_waitcnt lgkmcnt(0)
	v_div_scale_f32 v13, s[16:17], v15, v15, v1
	v_div_scale_f32 v14, vcc, v1, v15, v1
	s_mov_b64 s[16:17], 0
	v_rcp_f32_e32 v16, v13
	v_fma_f32 v17, -v13, v16, 1.0
	v_fmac_f32_e32 v16, v17, v16
	v_mul_f32_e32 v17, v14, v16
	v_fma_f32 v18, -v13, v17, v14
	v_fmac_f32_e32 v17, v18, v16
	v_fma_f32 v13, -v13, v17, v14
	v_div_fmas_f32 v16, v13, v16, v17
	v_mov_b32_e32 v14, v4
	v_mov_b32_e32 v13, v3
	v_div_fixup_f32 v1, v16, v15, v1
	v_mov_b32_e32 v15, v0
.LBB3_103:                              ;   Parent Loop BB3_12 Depth=1
                                        ;     Parent Loop BB3_21 Depth=2
                                        ;       Parent Loop BB3_68 Depth=3
                                        ; =>      This Inner Loop Header: Depth=4
	global_load_dword v16, v[13:14], off
	v_add_u32_e32 v15, 0x100, v15
	v_cmp_lt_i32_e32 vcc, s68, v15
	s_or_b64 s[16:17], vcc, s[16:17]
	s_waitcnt vmcnt(0)
	v_mul_f32_e32 v16, v1, v16
	global_store_dword v[13:14], v16, off
	v_add_co_u32_e32 v13, vcc, 0x400, v13
	v_addc_co_u32_e32 v14, vcc, 0, v14, vcc
	s_andn2_b64 exec, exec, s[16:17]
	s_cbranch_execnz .LBB3_103
.LBB3_104:                              ;   in Loop: Header=BB3_68 Depth=3
	s_or_b64 exec, exec, s[14:15]
	s_waitcnt vmcnt(0)
	s_barrier
	s_and_saveexec_b64 s[16:17], s[0:1]
	s_cbranch_execz .LBB3_132
; %bb.105:                              ;   in Loop: Header=BB3_68 Depth=3
	global_load_dwordx2 v[13:14], v2, s[38:39]
	global_load_dword v1, v2, s[40:41] offset:4
	s_mov_b64 s[14:15], s[46:47]
	s_mov_b64 s[88:89], s[44:45]
	s_andn2_b64 vcc, exec, s[80:81]
	s_mov_b32 s26, s67
	s_waitcnt vmcnt(0)
	v_max3_f32 v1, |v13|, |v14|, |v1|
	s_cbranch_vccnz .LBB3_107
.LBB3_106:                              ;   Parent Loop BB3_12 Depth=1
                                        ;     Parent Loop BB3_21 Depth=2
                                        ;       Parent Loop BB3_68 Depth=3
                                        ; =>      This Inner Loop Header: Depth=4
	s_add_u32 s90, s88, s59
	s_addc_u32 s91, s89, s22
	global_load_dword v13, v2, s[14:15]
	global_load_dword v14, v2, s[88:89]
	;; [unrolled: 1-line block ×3, first 2 shown]
	s_add_i32 s26, s26, -1
	s_add_u32 s88, s88, 4
	s_addc_u32 s89, s89, 0
	s_add_u32 s14, s14, 4
	s_addc_u32 s15, s15, 0
	s_cmp_lg_u32 s26, 0
	s_waitcnt vmcnt(2)
	v_max_f32_e64 v13, |v13|, |v13|
	s_waitcnt vmcnt(0)
	v_max_f32_e64 v15, |v15|, |v15|
	v_max_f32_e32 v13, v15, v13
	v_max3_f32 v1, v1, |v14|, v13
	s_cbranch_scc1 .LBB3_106
.LBB3_107:                              ;   in Loop: Header=BB3_68 Depth=3
	s_mov_b32 s26, s68
	s_mov_b64 s[14:15], s[20:21]
	s_mov_b64 s[88:89], s[42:43]
	;; [unrolled: 1-line block ×3, first 2 shown]
	s_branch .LBB3_109
.LBB3_108:                              ;   in Loop: Header=BB3_109 Depth=4
	s_add_u32 s90, s90, 4
	s_addc_u32 s91, s91, 0
	s_add_u32 s88, s88, 4
	s_addc_u32 s89, s89, 0
	;; [unrolled: 2-line block ×3, first 2 shown]
	s_add_i32 s26, s26, -1
	s_cmp_lg_u32 s26, 0
	s_cbranch_scc0 .LBB3_113
.LBB3_109:                              ;   Parent Loop BB3_12 Depth=1
                                        ;     Parent Loop BB3_21 Depth=2
                                        ;       Parent Loop BB3_68 Depth=3
                                        ; =>      This Inner Loop Header: Depth=4
	global_load_dword v13, v2, s[14:15]
	s_waitcnt vmcnt(0)
	v_cmp_ne_u32_e32 vcc, 0, v13
	s_cbranch_vccz .LBB3_111
; %bb.110:                              ;   in Loop: Header=BB3_109 Depth=4
	global_load_dwordx2 v[13:14], v2, s[90:91] offset:-4
	s_waitcnt vmcnt(0)
	global_store_dword v2, v14, s[90:91] offset:-4
	global_load_dword v15, v2, s[88:89]
	s_waitcnt vmcnt(0)
	v_fma_f32 v13, -v14, v15, v13
	global_store_dword v2, v13, s[90:91]
	s_cbranch_execnz .LBB3_108
	s_branch .LBB3_112
.LBB3_111:                              ;   in Loop: Header=BB3_109 Depth=4
.LBB3_112:                              ;   in Loop: Header=BB3_109 Depth=4
	global_load_dwordx2 v[13:14], v2, s[90:91] offset:-4
	global_load_dword v15, v2, s[88:89]
	s_waitcnt vmcnt(0)
	v_fma_f32 v13, -v15, v13, v14
	global_store_dword v2, v13, s[90:91]
	s_branch .LBB3_108
.LBB3_113:                              ;   in Loop: Header=BB3_68 Depth=3
	v_mul_f32_e32 v1, s52, v1
	v_mov_b32_e32 v13, s52
	v_cmp_eq_f32_e32 vcc, 0, v1
	v_cndmask_b32_e32 v1, v1, v13, vcc
	v_and_b32_e32 v13, 0x7fffffff, v1
	s_mov_b32 s26, s68
	s_branch .LBB3_116
.LBB3_114:                              ;   in Loop: Header=BB3_116 Depth=4
	v_mov_b32_e32 v15, v19
.LBB3_115:                              ;   in Loop: Header=BB3_116 Depth=4
	v_div_scale_f32 v16, s[14:15], v15, v15, v14
	v_div_scale_f32 v17, vcc, v14, v15, v14
	s_add_i32 s14, s26, -1
	s_cmp_gt_i32 s26, 0
	s_mov_b32 s26, s14
	v_rcp_f32_e32 v18, v16
	v_fma_f32 v19, -v16, v18, 1.0
	v_fmac_f32_e32 v18, v19, v18
	v_mul_f32_e32 v19, v17, v18
	v_fma_f32 v20, -v16, v19, v17
	v_fmac_f32_e32 v19, v20, v18
	v_fma_f32 v16, -v16, v19, v17
	v_div_fmas_f32 v16, v16, v18, v19
	v_div_fixup_f32 v14, v16, v15, v14
	global_store_dword v2, v14, s[88:89]
	s_cbranch_scc0 .LBB3_132
.LBB3_116:                              ;   Parent Loop BB3_12 Depth=1
                                        ;     Parent Loop BB3_21 Depth=2
                                        ;       Parent Loop BB3_68 Depth=3
                                        ; =>      This Loop Header: Depth=4
                                        ;           Child Loop BB3_122 Depth 5
	s_lshl_b64 s[14:15], s[26:27], 2
	s_add_u32 s88, s18, s14
	s_addc_u32 s89, s19, s15
	global_load_dword v14, v2, s[88:89]
	s_cmp_ge_i32 s26, s68
	s_cbranch_scc1 .LBB3_118
; %bb.117:                              ;   in Loop: Header=BB3_116 Depth=4
	s_add_u32 s90, s40, s14
	s_addc_u32 s91, s41, s15
	global_load_dword v15, v2, s[90:91] offset:4
	global_load_dword v16, v2, s[88:89] offset:4
	s_waitcnt vmcnt(0)
	v_fma_f32 v14, -v15, v16, v14
.LBB3_118:                              ;   in Loop: Header=BB3_116 Depth=4
	s_cmp_ge_i32 s26, s67
	s_cbranch_scc1 .LBB3_120
; %bb.119:                              ;   in Loop: Header=BB3_116 Depth=4
	s_add_u32 s90, s46, s14
	s_addc_u32 s91, s47, s15
	global_load_dword v15, v2, s[90:91]
	global_load_dword v16, v2, s[88:89] offset:8
	s_waitcnt vmcnt(0)
	v_fma_f32 v14, -v15, v16, v14
.LBB3_120:                              ;   in Loop: Header=BB3_116 Depth=4
	s_add_u32 s14, s38, s14
	s_addc_u32 s15, s39, s15
	global_load_dword v15, v2, s[14:15]
	s_waitcnt vmcnt(0)
	v_cmp_nlt_f32_e64 s[14:15], |v15|, 1.0
	s_and_b64 vcc, exec, s[14:15]
	s_cbranch_vccnz .LBB3_115
; %bb.121:                              ;   in Loop: Header=BB3_116 Depth=4
	v_cmp_nle_f32_e32 vcc, 0, v15
	v_and_b32_e32 v18, 0x7fffffff, v15
	v_cndmask_b32_e64 v17, |v1|, -v13, vcc
	v_mul_f32_e64 v16, s53, |v14|
.LBB3_122:                              ;   Parent Loop BB3_12 Depth=1
                                        ;     Parent Loop BB3_21 Depth=2
                                        ;       Parent Loop BB3_68 Depth=3
                                        ;         Parent Loop BB3_116 Depth=4
                                        ; =>        This Inner Loop Header: Depth=5
	v_cmp_ngt_f32_e32 vcc, s53, v18
	s_mov_b64 s[14:15], -1
	s_mov_b64 s[90:91], 0
	s_mov_b64 s[92:93], -1
	s_cbranch_vccnz .LBB3_126
; %bb.123:                              ;   in Loop: Header=BB3_122 Depth=5
	s_andn2_b64 vcc, exec, s[92:93]
	s_cbranch_vccz .LBB3_127
.LBB3_124:                              ;   in Loop: Header=BB3_122 Depth=5
	s_andn2_b64 vcc, exec, s[90:91]
	s_cbranch_vccnz .LBB3_128
.LBB3_125:                              ;   in Loop: Header=BB3_122 Depth=5
	v_add_f32_e32 v19, v15, v17
	v_add_f32_e32 v17, v17, v17
	v_and_b32_e32 v18, 0x7fffffff, v19
	v_cmp_nlt_f32_e64 s[90:91], |v19|, 1.0
	s_mov_b64 s[14:15], -1
	s_andn2_b64 vcc, exec, s[90:91]
	s_cbranch_vccnz .LBB3_129
	s_branch .LBB3_130
.LBB3_126:                              ;   in Loop: Header=BB3_122 Depth=5
	v_mul_f32_e32 v19, v23, v18
	v_cmp_gt_f32_e64 s[90:91], |v14|, v19
	s_cbranch_execnz .LBB3_124
.LBB3_127:                              ;   in Loop: Header=BB3_122 Depth=5
	v_cmp_eq_f32_e32 vcc, 0, v15
	v_cmp_gt_f32_e64 s[14:15], v16, v18
	s_or_b64 s[90:91], vcc, s[14:15]
	s_mov_b64 s[14:15], 0
	s_andn2_b64 vcc, exec, s[90:91]
	s_cbranch_vccz .LBB3_125
.LBB3_128:                              ;   in Loop: Header=BB3_116 Depth=4
                                        ; implicit-def: $vgpr17
                                        ; implicit-def: $vgpr18
	v_mov_b32_e32 v19, v15
	s_branch .LBB3_130
.LBB3_129:                              ;   in Loop: Header=BB3_122 Depth=5
	v_mov_b32_e32 v15, v19
	s_branch .LBB3_122
.LBB3_130:                              ;   in Loop: Header=BB3_116 Depth=4
	s_andn2_b64 vcc, exec, s[14:15]
	s_cbranch_vccz .LBB3_114
; %bb.131:                              ;   in Loop: Header=BB3_116 Depth=4
	v_mul_f32_e32 v14, v23, v14
	v_mul_f32_e32 v19, v23, v15
	s_branch .LBB3_114
.LBB3_132:                              ;   in Loop: Header=BB3_68 Depth=3
	s_or_b64 exec, exec, s[16:17]
	s_andn2_b64 vcc, exec, s[84:85]
	s_waitcnt vmcnt(0)
	s_barrier
	s_cbranch_vccnz .LBB3_142
; %bb.133:                              ;   in Loop: Header=BB3_68 Depth=3
	s_and_b64 s[14:15], s[86:87], exec
	s_cselect_b32 s26, s82, s65
	s_cmp_eq_u32 s26, s82
	s_mov_b32 s65, s82
	s_cbranch_scc1 .LBB3_142
; %bb.134:                              ;   in Loop: Header=BB3_68 Depth=3
	s_cmp_lt_i32 s26, s82
	s_cselect_b64 s[14:15], -1, 0
	s_and_b64 s[16:17], s[0:1], s[14:15]
	s_and_saveexec_b64 s[14:15], s[16:17]
	s_cbranch_execz .LBB3_141
; %bb.135:                              ;   in Loop: Header=BB3_68 Depth=3
	s_mul_i32 s16, s37, s26
	s_add_i32 s65, s64, s16
	s_mov_b32 s90, s26
.LBB3_136:                              ;   Parent Loop BB3_12 Depth=1
                                        ;     Parent Loop BB3_21 Depth=2
                                        ;       Parent Loop BB3_68 Depth=3
                                        ; =>      This Loop Header: Depth=4
                                        ;           Child Loop BB3_137 Depth 5
                                        ;           Child Loop BB3_139 Depth 5
	v_mov_b32_e32 v1, 0
	s_mov_b64 s[16:17], s[18:19]
	s_mov_b32 s88, s65
	s_mov_b32 s91, s63
.LBB3_137:                              ;   Parent Loop BB3_12 Depth=1
                                        ;     Parent Loop BB3_21 Depth=2
                                        ;       Parent Loop BB3_68 Depth=3
                                        ;         Parent Loop BB3_136 Depth=4
                                        ; =>        This Inner Loop Header: Depth=5
	s_ashr_i32 s89, s88, 31
	s_lshl_b64 s[92:93], s[88:89], 3
	s_add_u32 s92, s36, s92
	s_addc_u32 s93, s58, s93
	global_load_dword v13, v2, s[16:17]
	global_load_dword v14, v2, s[92:93]
	s_add_i32 s91, s91, -1
	s_add_i32 s88, s88, 1
	s_add_u32 s16, s16, 4
	s_addc_u32 s17, s17, 0
	s_cmp_lg_u32 s91, 0
	s_waitcnt vmcnt(0)
	v_fmac_f32_e32 v1, v13, v14
	s_cbranch_scc1 .LBB3_137
; %bb.138:                              ;   in Loop: Header=BB3_136 Depth=4
	s_mov_b32 s88, 0
	s_mov_b64 s[16:17], s[18:19]
.LBB3_139:                              ;   Parent Loop BB3_12 Depth=1
                                        ;     Parent Loop BB3_21 Depth=2
                                        ;       Parent Loop BB3_68 Depth=3
                                        ;         Parent Loop BB3_136 Depth=4
                                        ; =>        This Inner Loop Header: Depth=5
	s_add_i32 s92, s65, s88
	s_ashr_i32 s93, s92, 31
	s_lshl_b64 s[92:93], s[92:93], 3
	s_add_u32 s92, s36, s92
	s_addc_u32 s93, s58, s93
	global_load_dword v13, v2, s[16:17]
	global_load_dword v14, v2, s[92:93]
	s_add_i32 s88, s88, 1
	s_waitcnt vmcnt(0)
	v_fma_f32 v13, -v1, v14, v13
	global_store_dword v2, v13, s[16:17]
	s_add_u32 s16, s16, 4
	s_addc_u32 s17, s17, 0
	s_cmp_lg_u32 s63, s88
	s_cbranch_scc1 .LBB3_139
; %bb.140:                              ;   in Loop: Header=BB3_136 Depth=4
	s_add_i32 s90, s90, 1
	s_add_i32 s65, s65, s37
	s_cmp_lt_i32 s90, s82
	s_cbranch_scc1 .LBB3_136
.LBB3_141:                              ;   in Loop: Header=BB3_68 Depth=3
	s_or_b64 exec, exec, s[14:15]
	s_mov_b32 s65, s26
	s_waitcnt vmcnt(0)
	s_barrier
.LBB3_142:                              ;   in Loop: Header=BB3_68 Depth=3
	v_mov_b32_e32 v1, 0
	v_bfrev_b32_e32 v15, -2
	s_and_saveexec_b64 s[88:89], s[12:13]
	s_cbranch_execz .LBB3_146
; %bb.143:                              ;   in Loop: Header=BB3_68 Depth=3
	v_mov_b32_e32 v14, v4
	v_mov_b32_e32 v1, 0
	v_bfrev_b32_e32 v15, -2
	s_mov_b64 s[90:91], 0
	v_mov_b32_e32 v13, v3
	v_mov_b32_e32 v16, v0
.LBB3_144:                              ;   Parent Loop BB3_12 Depth=1
                                        ;     Parent Loop BB3_21 Depth=2
                                        ;       Parent Loop BB3_68 Depth=3
                                        ; =>      This Inner Loop Header: Depth=4
	global_load_dword v17, v[13:14], off
	v_add_co_u32_e32 v13, vcc, 0x400, v13
	v_cmp_eq_u32_e64 s[14:15], s23, v15
	v_add_u32_e32 v18, 1, v16
	v_add_u32_e32 v16, 0x100, v16
	v_addc_co_u32_e32 v14, vcc, 0, v14, vcc
	v_cmp_le_u32_e64 s[16:17], s63, v16
	s_waitcnt vmcnt(0)
	v_cmp_lt_f32_e64 s[92:93], v1, |v17|
	s_or_b64 vcc, s[92:93], s[14:15]
	v_cndmask_b32_e64 v1, v1, |v17|, vcc
	s_or_b64 s[90:91], s[16:17], s[90:91]
	v_cndmask_b32_e32 v15, v15, v18, vcc
	s_andn2_b64 exec, exec, s[90:91]
	s_cbranch_execnz .LBB3_144
; %bb.145:                              ;   in Loop: Header=BB3_68 Depth=3
	s_or_b64 exec, exec, s[90:91]
.LBB3_146:                              ;   in Loop: Header=BB3_68 Depth=3
	s_or_b64 exec, exec, s[88:89]
	ds_write2st64_b32 v22, v1, v15 offset1:8
	s_waitcnt lgkmcnt(0)
	s_barrier
	s_and_saveexec_b64 s[16:17], s[2:3]
	s_cbranch_execz .LBB3_152
; %bb.147:                              ;   in Loop: Header=BB3_68 Depth=3
	ds_read2st64_b32 v[13:14], v22 offset0:2 offset1:10
	s_waitcnt lgkmcnt(0)
	v_cmp_lt_f32_e64 s[88:89], v1, v13
	v_cmp_nlt_f32_e32 vcc, v1, v13
	s_and_saveexec_b64 s[90:91], vcc
; %bb.148:                              ;   in Loop: Header=BB3_68 Depth=3
	v_cmp_eq_f32_e32 vcc, v1, v13
	v_cmp_gt_i32_e64 s[14:15], v15, v14
	s_and_b64 s[14:15], vcc, s[14:15]
	s_andn2_b64 s[88:89], s[88:89], exec
	s_and_b64 s[14:15], s[14:15], exec
	s_or_b64 s[88:89], s[88:89], s[14:15]
; %bb.149:                              ;   in Loop: Header=BB3_68 Depth=3
	s_or_b64 exec, exec, s[90:91]
	s_and_saveexec_b64 s[14:15], s[88:89]
; %bb.150:                              ;   in Loop: Header=BB3_68 Depth=3
	v_mov_b32_e32 v15, v14
	v_mov_b32_e32 v1, v13
	ds_write2st64_b32 v22, v13, v14 offset1:8
; %bb.151:                              ;   in Loop: Header=BB3_68 Depth=3
	s_or_b64 exec, exec, s[14:15]
.LBB3_152:                              ;   in Loop: Header=BB3_68 Depth=3
	s_or_b64 exec, exec, s[16:17]
	s_waitcnt lgkmcnt(0)
	s_barrier
	s_and_saveexec_b64 s[88:89], s[4:5]
	s_cbranch_execz .LBB3_179
; %bb.153:                              ;   in Loop: Header=BB3_68 Depth=3
	ds_read2st64_b32 v[13:14], v22 offset0:1 offset1:9
	s_waitcnt lgkmcnt(0)
	v_cmp_lt_f32_e64 s[16:17], v1, v13
	v_cmp_nlt_f32_e32 vcc, v1, v13
	s_and_saveexec_b64 s[90:91], vcc
; %bb.154:                              ;   in Loop: Header=BB3_68 Depth=3
	v_cmp_eq_f32_e32 vcc, v1, v13
	v_cmp_gt_i32_e64 s[14:15], v15, v14
	s_and_b64 s[14:15], vcc, s[14:15]
	s_andn2_b64 s[16:17], s[16:17], exec
	s_and_b64 s[14:15], s[14:15], exec
	s_or_b64 s[16:17], s[16:17], s[14:15]
; %bb.155:                              ;   in Loop: Header=BB3_68 Depth=3
	s_or_b64 exec, exec, s[90:91]
	s_and_saveexec_b64 s[14:15], s[16:17]
; %bb.156:                              ;   in Loop: Header=BB3_68 Depth=3
	v_mov_b32_e32 v1, v13
	v_mov_b32_e32 v15, v14
	ds_write2st64_b32 v22, v13, v14 offset1:8
; %bb.157:                              ;   in Loop: Header=BB3_68 Depth=3
	s_or_b64 exec, exec, s[14:15]
	v_add_u32_e32 v13, 0x80, v22
	ds_read2st64_b32 v[13:14], v13 offset1:8
	s_waitcnt lgkmcnt(0)
	v_cmp_lt_f32_e64 s[16:17], v1, v13
	v_cmp_nlt_f32_e32 vcc, v1, v13
	s_and_saveexec_b64 s[90:91], vcc
; %bb.158:                              ;   in Loop: Header=BB3_68 Depth=3
	v_cmp_eq_f32_e32 vcc, v1, v13
	v_cmp_gt_i32_e64 s[14:15], v15, v14
	s_and_b64 s[14:15], vcc, s[14:15]
	s_andn2_b64 s[16:17], s[16:17], exec
	s_and_b64 s[14:15], s[14:15], exec
	s_or_b64 s[16:17], s[16:17], s[14:15]
; %bb.159:                              ;   in Loop: Header=BB3_68 Depth=3
	s_or_b64 exec, exec, s[90:91]
	s_and_saveexec_b64 s[14:15], s[16:17]
; %bb.160:                              ;   in Loop: Header=BB3_68 Depth=3
	v_mov_b32_e32 v1, v13
	v_mov_b32_e32 v15, v14
	ds_write2st64_b32 v22, v13, v14 offset1:8
; %bb.161:                              ;   in Loop: Header=BB3_68 Depth=3
	s_or_b64 exec, exec, s[14:15]
	v_add_u32_e32 v13, 64, v22
	ds_read2st64_b32 v[13:14], v13 offset1:8
	;; [unrolled: 22-line block ×6, first 2 shown]
	s_waitcnt lgkmcnt(0)
	v_cmp_eq_f32_e64 s[14:15], v1, v13
	v_cmp_gt_i32_e64 s[16:17], v15, v14
	v_cmp_lt_f32_e32 vcc, v1, v13
	s_and_b64 s[14:15], s[14:15], s[16:17]
	s_or_b64 s[14:15], vcc, s[14:15]
	s_and_b64 exec, exec, s[14:15]
; %bb.178:                              ;   in Loop: Header=BB3_68 Depth=3
	ds_write2st64_b32 v22, v13, v14 offset1:8
.LBB3_179:                              ;   in Loop: Header=BB3_68 Depth=3
	s_or_b64 exec, exec, s[88:89]
	s_waitcnt lgkmcnt(0)
	s_barrier
	ds_read_b32 v1, v27
	s_add_i32 s16, s83, 1
	s_waitcnt lgkmcnt(0)
	v_cmp_ge_f32_e32 vcc, v1, v30
	v_cndmask_b32_e64 v1, 0, 1, vcc
	v_readfirstlane_b32 s14, v1
	s_add_i32 s51, s51, s14
	s_cmp_lt_u32 s83, 4
	s_cselect_b64 s[88:89], -1, 0
	s_cmp_lt_u32 s51, 2
	s_cselect_b64 s[14:15], -1, 0
	s_and_b64 s[88:89], s[88:89], s[14:15]
	s_and_b64 vcc, exec, s[88:89]
	s_cbranch_vccz .LBB3_181
; %bb.180:                              ;   in Loop: Header=BB3_68 Depth=3
	s_mov_b32 s83, s16
	v_mov_b32_e32 v1, 0
	v_bfrev_b32_e32 v15, -2
	s_and_saveexec_b64 s[88:89], s[12:13]
	s_cbranch_execnz .LBB3_65
	s_branch .LBB3_68
.LBB3_181:                              ;   in Loop: Header=BB3_21 Depth=2
	s_and_b64 s[16:17], s[54:55], s[14:15]
	s_and_saveexec_b64 s[14:15], s[16:17]
	s_cbranch_execz .LBB3_183
; %bb.182:                              ;   in Loop: Header=BB3_21 Depth=2
	ds_read_b32 v13, v2
	v_readlane_b32 s84, v41, 2
	v_readlane_b32 s85, v41, 3
	s_add_i32 s16, s82, 1
	v_mov_b32_e32 v1, s85
	s_waitcnt lgkmcnt(0)
	v_ashrrev_i32_e32 v14, 31, v13
	v_lshlrev_b64 v[14:15], 2, v[13:14]
	v_mov_b32_e32 v16, s16
	v_add_co_u32_e32 v14, vcc, s84, v14
	v_addc_co_u32_e32 v15, vcc, v1, v15, vcc
	v_add_u32_e32 v1, 1, v13
	global_store_dword v[14:15], v16, off
	ds_write_b32 v2, v1
.LBB3_183:                              ;   in Loop: Header=BB3_21 Depth=2
	s_or_b64 exec, exec, s[14:15]
	v_mov_b32_e32 v1, 0
	v_bfrev_b32_e32 v15, -2
	s_and_saveexec_b64 s[84:85], s[12:13]
	s_cbranch_execz .LBB3_187
; %bb.184:                              ;   in Loop: Header=BB3_21 Depth=2
	v_mov_b32_e32 v14, v4
	v_mov_b32_e32 v1, 0
	v_bfrev_b32_e32 v15, -2
	s_mov_b64 s[86:87], 0
	v_mov_b32_e32 v13, v3
	v_mov_b32_e32 v16, v0
.LBB3_185:                              ;   Parent Loop BB3_12 Depth=1
                                        ;     Parent Loop BB3_21 Depth=2
                                        ; =>    This Inner Loop Header: Depth=3
	global_load_dword v17, v[13:14], off
	v_add_co_u32_e32 v13, vcc, 0x400, v13
	v_cmp_eq_u32_e64 s[14:15], s23, v15
	v_add_u32_e32 v18, 1, v16
	v_add_u32_e32 v16, 0x100, v16
	v_addc_co_u32_e32 v14, vcc, 0, v14, vcc
	v_cmp_le_u32_e64 s[16:17], s63, v16
	s_waitcnt vmcnt(0)
	v_cmp_lt_f32_e64 s[88:89], v1, |v17|
	s_or_b64 vcc, s[88:89], s[14:15]
	v_cndmask_b32_e64 v1, v1, |v17|, vcc
	s_or_b64 s[86:87], s[16:17], s[86:87]
	v_cndmask_b32_e32 v15, v15, v18, vcc
	s_andn2_b64 exec, exec, s[86:87]
	s_cbranch_execnz .LBB3_185
; %bb.186:                              ;   in Loop: Header=BB3_21 Depth=2
	s_or_b64 exec, exec, s[86:87]
.LBB3_187:                              ;   in Loop: Header=BB3_21 Depth=2
	s_or_b64 exec, exec, s[84:85]
	ds_write2st64_b32 v22, v1, v15 offset1:8
	s_waitcnt vmcnt(0) lgkmcnt(0)
	s_barrier
	s_and_saveexec_b64 s[16:17], s[2:3]
	s_cbranch_execz .LBB3_193
; %bb.188:                              ;   in Loop: Header=BB3_21 Depth=2
	ds_read2st64_b32 v[13:14], v22 offset0:2 offset1:10
	s_waitcnt lgkmcnt(0)
	v_cmp_lt_f32_e64 s[84:85], v1, v13
	v_cmp_nlt_f32_e32 vcc, v1, v13
	s_and_saveexec_b64 s[86:87], vcc
; %bb.189:                              ;   in Loop: Header=BB3_21 Depth=2
	v_cmp_eq_f32_e32 vcc, v1, v13
	v_cmp_gt_i32_e64 s[14:15], v15, v14
	s_and_b64 s[14:15], vcc, s[14:15]
	s_andn2_b64 s[84:85], s[84:85], exec
	s_and_b64 s[14:15], s[14:15], exec
	s_or_b64 s[84:85], s[84:85], s[14:15]
; %bb.190:                              ;   in Loop: Header=BB3_21 Depth=2
	s_or_b64 exec, exec, s[86:87]
	s_and_saveexec_b64 s[14:15], s[84:85]
; %bb.191:                              ;   in Loop: Header=BB3_21 Depth=2
	v_mov_b32_e32 v15, v14
	v_mov_b32_e32 v1, v13
	ds_write2st64_b32 v22, v13, v14 offset1:8
; %bb.192:                              ;   in Loop: Header=BB3_21 Depth=2
	s_or_b64 exec, exec, s[14:15]
.LBB3_193:                              ;   in Loop: Header=BB3_21 Depth=2
	s_or_b64 exec, exec, s[16:17]
	s_waitcnt lgkmcnt(0)
	s_barrier
	s_and_saveexec_b64 s[84:85], s[4:5]
	s_cbranch_execz .LBB3_220
; %bb.194:                              ;   in Loop: Header=BB3_21 Depth=2
	ds_read2st64_b32 v[13:14], v22 offset0:1 offset1:9
	s_waitcnt lgkmcnt(0)
	v_cmp_lt_f32_e64 s[16:17], v1, v13
	v_cmp_nlt_f32_e32 vcc, v1, v13
	s_and_saveexec_b64 s[86:87], vcc
; %bb.195:                              ;   in Loop: Header=BB3_21 Depth=2
	v_cmp_eq_f32_e32 vcc, v1, v13
	v_cmp_gt_i32_e64 s[14:15], v15, v14
	s_and_b64 s[14:15], vcc, s[14:15]
	s_andn2_b64 s[16:17], s[16:17], exec
	s_and_b64 s[14:15], s[14:15], exec
	s_or_b64 s[16:17], s[16:17], s[14:15]
; %bb.196:                              ;   in Loop: Header=BB3_21 Depth=2
	s_or_b64 exec, exec, s[86:87]
	s_and_saveexec_b64 s[14:15], s[16:17]
; %bb.197:                              ;   in Loop: Header=BB3_21 Depth=2
	v_mov_b32_e32 v1, v13
	v_mov_b32_e32 v15, v14
	ds_write2st64_b32 v22, v13, v14 offset1:8
; %bb.198:                              ;   in Loop: Header=BB3_21 Depth=2
	s_or_b64 exec, exec, s[14:15]
	v_add_u32_e32 v13, 0x80, v22
	ds_read2st64_b32 v[13:14], v13 offset1:8
	s_waitcnt lgkmcnt(0)
	v_cmp_lt_f32_e64 s[16:17], v1, v13
	v_cmp_nlt_f32_e32 vcc, v1, v13
	s_and_saveexec_b64 s[86:87], vcc
; %bb.199:                              ;   in Loop: Header=BB3_21 Depth=2
	v_cmp_eq_f32_e32 vcc, v1, v13
	v_cmp_gt_i32_e64 s[14:15], v15, v14
	s_and_b64 s[14:15], vcc, s[14:15]
	s_andn2_b64 s[16:17], s[16:17], exec
	s_and_b64 s[14:15], s[14:15], exec
	s_or_b64 s[16:17], s[16:17], s[14:15]
; %bb.200:                              ;   in Loop: Header=BB3_21 Depth=2
	s_or_b64 exec, exec, s[86:87]
	s_and_saveexec_b64 s[14:15], s[16:17]
; %bb.201:                              ;   in Loop: Header=BB3_21 Depth=2
	v_mov_b32_e32 v1, v13
	v_mov_b32_e32 v15, v14
	ds_write2st64_b32 v22, v13, v14 offset1:8
; %bb.202:                              ;   in Loop: Header=BB3_21 Depth=2
	s_or_b64 exec, exec, s[14:15]
	v_add_u32_e32 v13, 64, v22
	ds_read2st64_b32 v[13:14], v13 offset1:8
	;; [unrolled: 22-line block ×6, first 2 shown]
	s_waitcnt lgkmcnt(0)
	v_cmp_eq_f32_e64 s[14:15], v1, v13
	v_cmp_gt_i32_e64 s[16:17], v15, v14
	v_cmp_lt_f32_e32 vcc, v1, v13
	s_and_b64 s[14:15], s[14:15], s[16:17]
	s_or_b64 s[14:15], vcc, s[14:15]
	s_and_b64 exec, exec, s[14:15]
; %bb.219:                              ;   in Loop: Header=BB3_21 Depth=2
	ds_write2st64_b32 v22, v13, v14 offset1:8
.LBB3_220:                              ;   in Loop: Header=BB3_21 Depth=2
	s_or_b64 exec, exec, s[84:85]
	v_mov_b32_e32 v1, 0
	s_and_saveexec_b64 s[16:17], s[12:13]
	s_cbranch_execz .LBB3_224
; %bb.221:                              ;   in Loop: Header=BB3_21 Depth=2
	v_mov_b32_e32 v14, v4
	v_mov_b32_e32 v1, 0
	s_mov_b64 s[84:85], 0
	v_mov_b32_e32 v13, v3
	v_mov_b32_e32 v15, v0
.LBB3_222:                              ;   Parent Loop BB3_12 Depth=1
                                        ;     Parent Loop BB3_21 Depth=2
                                        ; =>    This Inner Loop Header: Depth=3
	global_load_dword v16, v[13:14], off
	v_add_u32_e32 v15, 0x100, v15
	v_add_co_u32_e32 v13, vcc, 0x400, v13
	v_cmp_le_u32_e64 s[14:15], s63, v15
	v_addc_co_u32_e32 v14, vcc, 0, v14, vcc
	s_or_b64 s[84:85], s[14:15], s[84:85]
	s_waitcnt vmcnt(0)
	v_fmac_f32_e32 v1, v16, v16
	s_andn2_b64 exec, exec, s[84:85]
	s_cbranch_execnz .LBB3_222
; %bb.223:                              ;   in Loop: Header=BB3_21 Depth=2
	s_or_b64 exec, exec, s[84:85]
.LBB3_224:                              ;   in Loop: Header=BB3_21 Depth=2
	s_or_b64 exec, exec, s[16:17]
	ds_write_b32 v22, v1 offset:1024
	s_waitcnt lgkmcnt(0)
	s_barrier
	s_and_saveexec_b64 s[14:15], s[2:3]
	s_cbranch_execz .LBB3_226
; %bb.225:                              ;   in Loop: Header=BB3_21 Depth=2
	ds_read_b32 v13, v22 offset:1536
	s_waitcnt lgkmcnt(0)
	v_add_f32_e32 v1, v1, v13
.LBB3_226:                              ;   in Loop: Header=BB3_21 Depth=2
	s_or_b64 exec, exec, s[14:15]
	s_barrier
	s_and_saveexec_b64 s[14:15], s[2:3]
; %bb.227:                              ;   in Loop: Header=BB3_21 Depth=2
	ds_write_b32 v22, v1 offset:1024
; %bb.228:                              ;   in Loop: Header=BB3_21 Depth=2
	s_or_b64 exec, exec, s[14:15]
	s_waitcnt lgkmcnt(0)
	s_barrier
	s_and_saveexec_b64 s[14:15], s[4:5]
	s_cbranch_execz .LBB3_230
; %bb.229:                              ;   in Loop: Header=BB3_21 Depth=2
	ds_read2st64_b32 v[13:14], v22 offset0:4 offset1:5
	v_add_u32_e32 v1, 0x400, v22
	s_waitcnt lgkmcnt(0)
	v_add_f32_e32 v13, v13, v14
	ds_write_b32 v22, v13 offset:1024
	s_waitcnt lgkmcnt(0)
	buffer_wbinvl1_vol
	ds_read2_b32 v[13:14], v1 offset1:32
	s_waitcnt lgkmcnt(0)
	v_add_f32_e32 v13, v13, v14
	ds_write_b32 v22, v13 offset:1024
	s_waitcnt lgkmcnt(0)
	buffer_wbinvl1_vol
	ds_read2_b32 v[13:14], v1 offset1:16
	;; [unrolled: 6-line block ×6, first 2 shown]
	s_waitcnt lgkmcnt(0)
	v_add_f32_e32 v1, v13, v14
	ds_write_b32 v22, v1 offset:1024
	s_waitcnt lgkmcnt(0)
	buffer_wbinvl1_vol
.LBB3_230:                              ;   in Loop: Header=BB3_21 Depth=2
	s_or_b64 exec, exec, s[14:15]
	s_and_saveexec_b64 s[16:17], s[0:1]
	s_cbranch_execz .LBB3_232
; %bb.231:                              ;   in Loop: Header=BB3_21 Depth=2
	ds_read_b32 v1, v27 offset:1024
	s_mov_b32 s14, 0xf800000
	s_waitcnt lgkmcnt(0)
	v_mul_f32_e32 v13, 0x4f800000, v1
	v_cmp_gt_f32_e32 vcc, s14, v1
	v_cndmask_b32_e32 v1, v1, v13, vcc
	v_sqrt_f32_e32 v13, v1
	v_add_u32_e32 v14, -1, v13
	v_add_u32_e32 v15, 1, v13
	v_fma_f32 v16, -v14, v13, v1
	v_fma_f32 v17, -v15, v13, v1
	v_cmp_ge_f32_e64 s[14:15], 0, v16
	v_cndmask_b32_e64 v13, v13, v14, s[14:15]
	v_cmp_lt_f32_e64 s[14:15], 0, v17
	v_cndmask_b32_e64 v13, v13, v15, s[14:15]
	v_mul_f32_e32 v14, 0x37800000, v13
	v_cndmask_b32_e32 v13, v13, v14, vcc
	v_cmp_class_f32_e32 vcc, v1, v24
	v_cndmask_b32_e32 v1, v13, v1, vcc
	ds_write_b32 v27, v1 offset:1024
.LBB3_232:                              ;   in Loop: Header=BB3_21 Depth=2
	s_or_b64 exec, exec, s[16:17]
	s_waitcnt lgkmcnt(0)
	s_barrier
	ds_read2st64_b32 v[13:14], v27 offset0:4 offset1:8
	v_mov_b32_e32 v1, s19
	s_waitcnt lgkmcnt(0)
	v_ashrrev_i32_e32 v15, 31, v14
	v_lshlrev_b64 v[14:15], 2, v[14:15]
	v_add_co_u32_e32 v14, vcc, s18, v14
	v_addc_co_u32_e32 v15, vcc, v1, v15, vcc
	global_load_dword v1, v[14:15], off offset:-4
	s_waitcnt vmcnt(0)
	s_barrier
	s_and_saveexec_b64 s[14:15], s[8:9]
	s_cbranch_execz .LBB3_235
; %bb.233:                              ;   in Loop: Header=BB3_21 Depth=2
	v_cmp_nle_f32_e32 vcc, 0, v1
	v_cndmask_b32_e64 v1, 1.0, -1.0, vcc
	v_div_scale_f32 v14, s[16:17], v13, v13, v1
	v_div_scale_f32 v15, vcc, v1, v13, v1
	s_mov_b64 s[16:17], 0
	v_rcp_f32_e32 v16, v14
	v_fma_f32 v17, -v14, v16, 1.0
	v_fmac_f32_e32 v16, v17, v16
	v_mul_f32_e32 v17, v15, v16
	v_fma_f32 v18, -v14, v17, v15
	v_fmac_f32_e32 v17, v18, v16
	v_fma_f32 v14, -v14, v17, v15
	v_div_fmas_f32 v16, v14, v16, v17
	v_mov_b32_e32 v15, v4
	v_mov_b32_e32 v14, v3
	v_div_fixup_f32 v1, v16, v13, v1
	v_mov_b32_e32 v13, v0
.LBB3_234:                              ;   Parent Loop BB3_12 Depth=1
                                        ;     Parent Loop BB3_21 Depth=2
                                        ; =>    This Inner Loop Header: Depth=3
	global_load_dword v16, v[14:15], off
	v_add_u32_e32 v13, 0x100, v13
	v_cmp_lt_i32_e32 vcc, s68, v13
	s_or_b64 s[16:17], vcc, s[16:17]
	s_waitcnt vmcnt(0)
	v_mul_f32_e32 v16, v1, v16
	global_store_dword v[14:15], v16, off
	v_add_co_u32_e32 v14, vcc, 0x400, v14
	v_addc_co_u32_e32 v15, vcc, 0, v15, vcc
	s_andn2_b64 exec, exec, s[16:17]
	s_cbranch_execnz .LBB3_234
.LBB3_235:                              ;   in Loop: Header=BB3_21 Depth=2
	s_or_b64 exec, exec, s[14:15]
	s_waitcnt vmcnt(0)
	s_barrier
	s_and_saveexec_b64 s[16:17], s[6:7]
	s_cbranch_execz .LBB3_240
.LBB3_236:                              ;   in Loop: Header=BB3_21 Depth=2
	s_mov_b64 s[84:85], 0
	v_mov_b32_e32 v13, v0
	s_branch .LBB3_238
.LBB3_237:                              ;   in Loop: Header=BB3_238 Depth=3
	s_or_b64 exec, exec, s[14:15]
	v_add_u32_e32 v14, s50, v13
	v_ashrrev_i32_e32 v15, 31, v14
	v_lshlrev_b64 v[14:15], 3, v[14:15]
	v_mov_b32_e32 v16, s58
	v_add_co_u32_e32 v14, vcc, s36, v14
	v_addc_co_u32_e32 v15, vcc, v16, v15, vcc
	v_add_u32_e32 v13, 0x100, v13
	v_cmp_le_i32_e32 vcc, s28, v13
	s_or_b64 s[84:85], vcc, s[84:85]
	s_waitcnt vmcnt(0)
	global_store_dwordx2 v[14:15], v[1:2], off
	s_andn2_b64 exec, exec, s[84:85]
	s_cbranch_execz .LBB3_240
.LBB3_238:                              ;   Parent Loop BB3_12 Depth=1
                                        ;     Parent Loop BB3_21 Depth=2
                                        ; =>    This Inner Loop Header: Depth=3
	v_cmp_le_i32_e32 vcc, s64, v13
	v_cmp_gt_i32_e64 s[14:15], s66, v13
	s_and_b64 s[86:87], vcc, s[14:15]
	v_mov_b32_e32 v1, 0
	s_and_saveexec_b64 s[14:15], s[86:87]
	s_cbranch_execz .LBB3_237
; %bb.239:                              ;   in Loop: Header=BB3_238 Depth=3
	v_add_u32_e32 v1, s69, v13
	v_lshlrev_b64 v[14:15], 2, v[1:2]
	v_mov_b32_e32 v1, s19
	v_add_co_u32_e32 v14, vcc, s18, v14
	v_addc_co_u32_e32 v15, vcc, v1, v15, vcc
	global_load_dword v1, v[14:15], off
	s_branch .LBB3_237
.LBB3_240:                              ;   in Loop: Header=BB3_21 Depth=2
	s_or_b64 exec, exec, s[16:17]
	s_add_i32 s49, s49, 1
	s_add_i32 s82, s82, 1
	;; [unrolled: 1-line block ×3, first 2 shown]
	s_cmp_ge_i32 s82, s48
	s_waitcnt vmcnt(0)
	s_barrier
	s_cselect_b64 s[14:15], -1, 0
	s_mov_b32 s16, s35
	s_and_b64 vcc, exec, s[14:15]
	s_cbranch_vccnz .LBB3_10
.LBB3_241:                              ;   in Loop: Header=BB3_21 Depth=2
	v_mov_b32_e32 v1, v28
	s_branch .LBB3_21
.LBB3_242:
	s_and_saveexec_b64 s[2:3], s[0:1]
	s_cbranch_execz .LBB3_244
; %bb.243:
	v_mov_b32_e32 v0, 0
	ds_read_b32 v1, v0
	v_readlane_b32 s4, v41, 4
	v_readlane_b32 s6, v41, 6
	;; [unrolled: 1-line block ×6, first 2 shown]
	s_mov_b64 s[6:7], s[10:11]
	v_readlane_b32 s1, v41, 1
	s_add_u32 s0, s6, s0
	s_addc_u32 s1, s7, s1
	v_readlane_b32 s5, v41, 5
	v_readlane_b32 s8, v41, 8
	;; [unrolled: 1-line block ×3, first 2 shown]
	s_waitcnt lgkmcnt(0)
	global_store_dword v0, v1, s[0:1]
.LBB3_244:
	s_endpgm
	.section	.rodata,"a",@progbits
	.p2align	6, 0x0
	.amdhsa_kernel _ZN9rocsolver6v33100L12stein_kernelI19rocblas_complex_numIfEfPS3_EEviPT0_lS6_lPiS6_lS7_lS7_lT1_iilS7_lS7_S6_S7_S5_S5_
		.amdhsa_group_segment_fixed_size 8
		.amdhsa_private_segment_fixed_size 0
		.amdhsa_kernarg_size 168
		.amdhsa_user_sgpr_count 6
		.amdhsa_user_sgpr_private_segment_buffer 1
		.amdhsa_user_sgpr_dispatch_ptr 0
		.amdhsa_user_sgpr_queue_ptr 0
		.amdhsa_user_sgpr_kernarg_segment_ptr 1
		.amdhsa_user_sgpr_dispatch_id 0
		.amdhsa_user_sgpr_flat_scratch_init 0
		.amdhsa_user_sgpr_private_segment_size 0
		.amdhsa_uses_dynamic_stack 0
		.amdhsa_system_sgpr_private_segment_wavefront_offset 0
		.amdhsa_system_sgpr_workgroup_id_x 1
		.amdhsa_system_sgpr_workgroup_id_y 1
		.amdhsa_system_sgpr_workgroup_id_z 0
		.amdhsa_system_sgpr_workgroup_info 0
		.amdhsa_system_vgpr_workitem_id 0
		.amdhsa_next_free_vgpr 42
		.amdhsa_next_free_sgpr 96
		.amdhsa_reserve_vcc 1
		.amdhsa_reserve_flat_scratch 0
		.amdhsa_float_round_mode_32 0
		.amdhsa_float_round_mode_16_64 0
		.amdhsa_float_denorm_mode_32 3
		.amdhsa_float_denorm_mode_16_64 3
		.amdhsa_dx10_clamp 1
		.amdhsa_ieee_mode 1
		.amdhsa_fp16_overflow 0
		.amdhsa_exception_fp_ieee_invalid_op 0
		.amdhsa_exception_fp_denorm_src 0
		.amdhsa_exception_fp_ieee_div_zero 0
		.amdhsa_exception_fp_ieee_overflow 0
		.amdhsa_exception_fp_ieee_underflow 0
		.amdhsa_exception_fp_ieee_inexact 0
		.amdhsa_exception_int_div_zero 0
	.end_amdhsa_kernel
	.section	.text._ZN9rocsolver6v33100L12stein_kernelI19rocblas_complex_numIfEfPS3_EEviPT0_lS6_lPiS6_lS7_lS7_lT1_iilS7_lS7_S6_S7_S5_S5_,"axG",@progbits,_ZN9rocsolver6v33100L12stein_kernelI19rocblas_complex_numIfEfPS3_EEviPT0_lS6_lPiS6_lS7_lS7_lT1_iilS7_lS7_S6_S7_S5_S5_,comdat
.Lfunc_end3:
	.size	_ZN9rocsolver6v33100L12stein_kernelI19rocblas_complex_numIfEfPS3_EEviPT0_lS6_lPiS6_lS7_lS7_lT1_iilS7_lS7_S6_S7_S5_S5_, .Lfunc_end3-_ZN9rocsolver6v33100L12stein_kernelI19rocblas_complex_numIfEfPS3_EEviPT0_lS6_lPiS6_lS7_lS7_lT1_iilS7_lS7_S6_S7_S5_S5_
                                        ; -- End function
	.set _ZN9rocsolver6v33100L12stein_kernelI19rocblas_complex_numIfEfPS3_EEviPT0_lS6_lPiS6_lS7_lS7_lT1_iilS7_lS7_S6_S7_S5_S5_.num_vgpr, 42
	.set _ZN9rocsolver6v33100L12stein_kernelI19rocblas_complex_numIfEfPS3_EEviPT0_lS6_lPiS6_lS7_lS7_lT1_iilS7_lS7_S6_S7_S5_S5_.num_agpr, 0
	.set _ZN9rocsolver6v33100L12stein_kernelI19rocblas_complex_numIfEfPS3_EEviPT0_lS6_lPiS6_lS7_lS7_lT1_iilS7_lS7_S6_S7_S5_S5_.numbered_sgpr, 96
	.set _ZN9rocsolver6v33100L12stein_kernelI19rocblas_complex_numIfEfPS3_EEviPT0_lS6_lPiS6_lS7_lS7_lT1_iilS7_lS7_S6_S7_S5_S5_.num_named_barrier, 0
	.set _ZN9rocsolver6v33100L12stein_kernelI19rocblas_complex_numIfEfPS3_EEviPT0_lS6_lPiS6_lS7_lS7_lT1_iilS7_lS7_S6_S7_S5_S5_.private_seg_size, 0
	.set _ZN9rocsolver6v33100L12stein_kernelI19rocblas_complex_numIfEfPS3_EEviPT0_lS6_lPiS6_lS7_lS7_lT1_iilS7_lS7_S6_S7_S5_S5_.uses_vcc, 1
	.set _ZN9rocsolver6v33100L12stein_kernelI19rocblas_complex_numIfEfPS3_EEviPT0_lS6_lPiS6_lS7_lS7_lT1_iilS7_lS7_S6_S7_S5_S5_.uses_flat_scratch, 0
	.set _ZN9rocsolver6v33100L12stein_kernelI19rocblas_complex_numIfEfPS3_EEviPT0_lS6_lPiS6_lS7_lS7_lT1_iilS7_lS7_S6_S7_S5_S5_.has_dyn_sized_stack, 0
	.set _ZN9rocsolver6v33100L12stein_kernelI19rocblas_complex_numIfEfPS3_EEviPT0_lS6_lPiS6_lS7_lS7_lT1_iilS7_lS7_S6_S7_S5_S5_.has_recursion, 0
	.set _ZN9rocsolver6v33100L12stein_kernelI19rocblas_complex_numIfEfPS3_EEviPT0_lS6_lPiS6_lS7_lS7_lT1_iilS7_lS7_S6_S7_S5_S5_.has_indirect_call, 0
	.section	.AMDGPU.csdata,"",@progbits
; Kernel info:
; codeLenInByte = 9292
; TotalNumSgprs: 100
; NumVgprs: 42
; ScratchSize: 0
; MemoryBound: 0
; FloatMode: 240
; IeeeMode: 1
; LDSByteSize: 8 bytes/workgroup (compile time only)
; SGPRBlocks: 12
; VGPRBlocks: 10
; NumSGPRsForWavesPerEU: 100
; NumVGPRsForWavesPerEU: 42
; Occupancy: 5
; WaveLimiterHint : 1
; COMPUTE_PGM_RSRC2:SCRATCH_EN: 0
; COMPUTE_PGM_RSRC2:USER_SGPR: 6
; COMPUTE_PGM_RSRC2:TRAP_HANDLER: 0
; COMPUTE_PGM_RSRC2:TGID_X_EN: 1
; COMPUTE_PGM_RSRC2:TGID_Y_EN: 1
; COMPUTE_PGM_RSRC2:TGID_Z_EN: 0
; COMPUTE_PGM_RSRC2:TIDIG_COMP_CNT: 0
	.section	.text._ZN9rocsolver6v33100L12stein_kernelI19rocblas_complex_numIdEdPS3_EEviPT0_lS6_lPiS6_lS7_lS7_lT1_iilS7_lS7_S6_S7_S5_S5_,"axG",@progbits,_ZN9rocsolver6v33100L12stein_kernelI19rocblas_complex_numIdEdPS3_EEviPT0_lS6_lPiS6_lS7_lS7_lT1_iilS7_lS7_S6_S7_S5_S5_,comdat
	.globl	_ZN9rocsolver6v33100L12stein_kernelI19rocblas_complex_numIdEdPS3_EEviPT0_lS6_lPiS6_lS7_lS7_lT1_iilS7_lS7_S6_S7_S5_S5_ ; -- Begin function _ZN9rocsolver6v33100L12stein_kernelI19rocblas_complex_numIdEdPS3_EEviPT0_lS6_lPiS6_lS7_lS7_lT1_iilS7_lS7_S6_S7_S5_S5_
	.p2align	8
	.type	_ZN9rocsolver6v33100L12stein_kernelI19rocblas_complex_numIdEdPS3_EEviPT0_lS6_lPiS6_lS7_lS7_lT1_iilS7_lS7_S6_S7_S5_S5_,@function
_ZN9rocsolver6v33100L12stein_kernelI19rocblas_complex_numIdEdPS3_EEviPT0_lS6_lPiS6_lS7_lS7_lT1_iilS7_lS7_S6_S7_S5_S5_: ; @_ZN9rocsolver6v33100L12stein_kernelI19rocblas_complex_numIdEdPS3_EEviPT0_lS6_lPiS6_lS7_lS7_lT1_iilS7_lS7_S6_S7_S5_S5_
; %bb.0:
	s_load_dwordx16 s[36:51], s[4:5], 0x8
	s_mov_b32 s6, s7
	s_ashr_i32 s7, s7, 31
	s_lshl_b64 s[2:3], s[6:7], 2
	s_waitcnt lgkmcnt(0)
	s_add_u32 s0, s44, s2
	s_addc_u32 s1, s45, s3
	s_load_dword s92, s[0:1], 0x0
	s_waitcnt lgkmcnt(0)
	s_cmp_lt_i32 s92, 1
	s_cbranch_scc1 .LBB4_246
; %bb.1:
	s_load_dwordx16 s[16:31], s[4:5], 0x70
                                        ; implicit-def: $vgpr61 : SGPR spill to VGPR lane
	s_mov_b64 s[0:1], 0
	v_writelane_b32 v61, s2, 0
	v_writelane_b32 v61, s3, 1
	;; [unrolled: 1-line block ×3, first 2 shown]
	s_waitcnt lgkmcnt(0)
	s_cmp_eq_u64 s[18:19], 0
	v_writelane_b32 v61, s1, 3
	s_cbranch_scc1 .LBB4_3
; %bb.2:
	s_mul_i32 s0, s20, s7
	s_mul_hi_u32 s1, s20, s6
	s_add_i32 s0, s1, s0
	s_mul_i32 s1, s21, s6
	s_add_i32 s1, s0, s1
	s_mul_i32 s0, s20, s6
	s_lshl_b64 s[0:1], s[0:1], 2
	s_add_u32 s0, s18, s0
	s_addc_u32 s1, s19, s1
	v_writelane_b32 v61, s0, 2
	v_writelane_b32 v61, s1, 3
.LBB4_3:
	v_cmp_eq_u32_e64 s[0:1], 0, v0
	s_and_saveexec_b64 s[2:3], s[0:1]
; %bb.4:
	v_mov_b32_e32 v1, 0
	ds_write_b32 v1, v1
; %bb.5:
	s_or_b64 exec, exec, s[2:3]
	v_readlane_b32 s2, v61, 2
	v_readlane_b32 s3, v61, 3
	s_cmp_lg_u64 s[2:3], 0
	s_cselect_b64 s[18:19], -1, 0
	v_cmp_gt_u32_e32 vcc, s92, v0
	s_mov_b64 s[8:9], 0
	s_and_b64 s[2:3], vcc, s[18:19]
	v_lshlrev_b32_e32 v45, 2, v0
	s_and_saveexec_b64 s[10:11], s[2:3]
	s_cbranch_execz .LBB4_8
; %bb.6:
	v_readlane_b32 s2, v61, 2
	v_readlane_b32 s3, v61, 3
	v_mov_b32_e32 v2, s3
	v_add_co_u32_e32 v1, vcc, s2, v45
	v_mov_b32_e32 v3, 0
	v_addc_co_u32_e32 v2, vcc, 0, v2, vcc
	v_mov_b32_e32 v4, v0
.LBB4_7:                                ; =>This Inner Loop Header: Depth=1
	v_add_u32_e32 v4, 0x100, v4
	global_store_dword v[1:2], v3, off
	v_add_co_u32_e32 v1, vcc, 0x400, v1
	v_cmp_le_i32_e64 s[2:3], s92, v4
	s_or_b64 s[8:9], s[2:3], s[8:9]
	v_addc_co_u32_e32 v2, vcc, 0, v2, vcc
	s_andn2_b64 exec, exec, s[8:9]
	s_cbranch_execnz .LBB4_7
.LBB4_8:
	s_or_b64 exec, exec, s[10:11]
	s_load_dwordx8 s[8:15], s[4:5], 0x48
	s_mov_b32 s21, 0
	s_mov_b32 s93, s21
	v_mov_b32_e32 v3, 0
	s_waitcnt lgkmcnt(0)
	s_mul_i32 s3, s8, s7
	s_mul_hi_u32 s20, s8, s6
	s_mul_i32 s9, s9, s6
	s_add_i32 s3, s20, s3
	s_mul_i32 s2, s8, s6
	s_add_i32 s3, s3, s9
	s_lshl_b64 s[2:3], s[2:3], 2
	s_add_u32 s67, s50, s2
	s_addc_u32 s33, s51, s3
	s_lshl_b64 s[2:3], s[92:93], 2
	s_add_u32 s2, s67, s2
	s_addc_u32 s3, s33, s3
	v_writelane_b32 v61, s2, 4
	v_writelane_b32 v61, s3, 5
	s_nop 3
	global_load_dword v4, v3, s[2:3] offset:-4
	s_waitcnt vmcnt(0)
	v_cmp_gt_i32_e32 vcc, 1, v4
	s_cbranch_vccnz .LBB4_244
; %bb.9:
	s_load_dword s54, s[4:5], 0x0
	s_load_dwordx2 s[56:57], s[4:5], 0x68
	v_div_scale_f64 v[1:2], s[4:5], s[30:31], s[30:31], 1.0
	s_mul_i32 s2, s38, s7
	s_mul_hi_u32 s3, s38, s6
	s_add_i32 s2, s3, s2
	s_mul_i32 s3, s39, s6
	s_add_i32 s3, s2, s3
	s_mul_i32 s2, s38, s6
	s_waitcnt lgkmcnt(0)
	s_ashr_i32 s55, s54, 31
	s_lshl_b64 s[2:3], s[2:3], 3
	s_add_u32 s20, s36, s2
	s_addc_u32 s38, s37, s3
	s_mul_i32 s2, s42, s7
	s_mul_hi_u32 s3, s42, s6
	s_add_i32 s2, s3, s2
	s_mul_i32 s3, s43, s6
	v_rcp_f64_e32 v[5:6], v[1:2]
	s_add_i32 s3, s2, s3
	s_mul_i32 s2, s42, s6
	s_lshl_b64 s[2:3], s[2:3], 3
	s_add_u32 s39, s40, s2
	s_addc_u32 s50, s41, s3
	s_mul_i32 s2, s48, s7
	s_mul_hi_u32 s3, s48, s6
	s_add_i32 s2, s3, s2
	s_mul_i32 s3, s49, s6
	s_add_i32 s3, s2, s3
	s_mul_i32 s2, s48, s6
	s_lshl_b64 s[2:3], s[2:3], 3
	s_add_u32 s62, s46, s2
	s_addc_u32 s2, s47, s3
	v_writelane_b32 v61, s2, 6
	v_fma_f64 v[7:8], -v[1:2], v[5:6], 1.0
	s_mul_i32 s2, s12, s7
	s_mul_hi_u32 s3, s12, s6
	s_add_i32 s2, s3, s2
	s_mul_i32 s3, s13, s6
	v_div_scale_f64 v[9:10], vcc, 1.0, s[30:31], 1.0
	s_add_i32 s3, s2, s3
	v_fma_f64 v[5:6], v[5:6], v[7:8], v[5:6]
	s_mul_i32 s2, s12, s6
	s_lshl_b64 s[2:3], s[2:3], 2
	s_add_u32 s35, s10, s2
	s_mul_i32 s8, s54, 5
	s_addc_u32 s2, s11, s3
	v_writelane_b32 v61, s2, 7
	s_mul_hi_i32 s3, s8, s6
	v_fma_f64 v[7:8], -v[1:2], v[5:6], 1.0
	s_mul_i32 s2, s8, s6
	s_lshl_b64 s[4:5], s[2:3], 3
	s_add_u32 s36, s24, s4
	s_mul_hi_i32 s9, s54, s6
	s_mul_i32 s8, s54, s6
	s_addc_u32 s37, s25, s5
	s_lshl_b64 s[8:9], s[8:9], 2
	v_fma_f64 v[5:6], v[5:6], v[7:8], v[5:6]
	s_add_u32 s78, s26, s8
	s_mul_i32 s7, s16, s7
	s_mul_hi_u32 s10, s16, s6
	s_addc_u32 s79, s27, s9
	s_add_i32 s7, s10, s7
	s_mul_i32 s10, s17, s6
	s_add_i32 s7, s7, s10
	s_mul_i32 s6, s16, s6
	s_ashr_i32 s9, s56, 31
	s_lshl_b64 s[6:7], s[6:7], 4
	s_mov_b32 s8, s56
	s_add_u32 s10, s14, s6
	s_addc_u32 s11, s15, s7
	s_lshl_b64 s[6:7], s[8:9], 4
	s_add_u32 s56, s10, s6
	s_mul_i32 s14, s54, 3
	s_addc_u32 s72, s11, s7
	s_ashr_i32 s15, s14, 31
	v_mul_f64 v[7:8], v[9:10], v[5:6]
	s_lshl_b64 s[6:7], s[14:15], 3
	s_add_u32 s40, s36, s6
	s_addc_u32 s41, s37, s7
	s_lshl_b64 s[8:9], s[54:55], 4
	s_sub_u32 s73, 0, s8
	s_subb_u32 s58, 0, s9
	s_add_u32 s42, s40, s73
	s_addc_u32 s43, s41, s58
	s_lshl_b64 s[10:11], s[54:55], 3
	s_add_u32 s46, s42, s10
	v_fma_f64 v[1:2], -v[1:2], v[7:8], v[9:10]
	s_addc_u32 s47, s43, s11
	s_add_u32 s48, s46, s8
	s_addc_u32 s49, s47, s9
	s_and_b64 s[80:81], s[0:1], s[18:19]
	s_add_u32 s12, s39, 8
	v_writelane_b32 v61, s12, 8
	s_addc_u32 s12, s50, 0
	v_writelane_b32 v61, s12, 9
	s_add_u32 s12, s20, 8
	v_writelane_b32 v61, s12, 10
	s_addc_u32 s12, s38, 0
	s_add_u32 s6, s4, s6
	v_div_fmas_f64 v[1:2], v[1:2], v[5:6], v[7:8]
	s_addc_u32 s7, s5, s7
	v_writelane_b32 v61, s12, 11
	s_add_u32 s12, s24, s6
	v_lshlrev_b32_e32 v13, 3, v0
	s_addc_u32 s13, s25, s7
	s_lshl_b32 s59, s54, 1
	v_mov_b32_e32 v6, s37
	v_add_co_u32_e32 v5, vcc, s36, v13
	v_add_u32_e32 v9, s54, v0
	s_sub_u32 s4, s6, s8
	v_addc_co_u32_e32 v6, vcc, 0, v6, vcc
	v_ashrrev_i32_e32 v10, 31, v9
	s_subb_u32 s5, s7, s9
	v_mov_b32_e32 v8, s13
	v_add_co_u32_e32 v7, vcc, s12, v13
	v_lshlrev_b64 v[9:10], 3, v[9:10]
	v_writelane_b32 v61, s4, 12
	v_addc_co_u32_e32 v8, vcc, 0, v8, vcc
	v_writelane_b32 v61, s5, 13
	s_add_u32 s2, s2, s14
	s_mov_b32 s4, s14
	v_mov_b32_e32 v11, s37
	v_add_co_u32_e32 v9, vcc, s36, v9
	v_writelane_b32 v61, s4, 14
	s_addc_u32 s3, s3, s15
	v_addc_co_u32_e32 v10, vcc, v11, v10, vcc
	v_max_f64 v[11:12], s[28:29], s[28:29]
	v_writelane_b32 v61, s5, 15
	s_add_u32 s4, s2, s54
	s_addc_u32 s5, s3, s55
	s_lshl_b64 s[4:5], s[4:5], 3
	s_lshl_b64 s[2:3], s[2:3], 3
	v_writelane_b32 v61, s4, 16
	s_sub_u32 s2, s2, s10
	v_writelane_b32 v61, s5, 17
	s_subb_u32 s3, s3, s11
	v_writelane_b32 v61, s2, 18
	v_writelane_b32 v61, s3, 19
	s_add_u32 s2, s6, 8
	s_addc_u32 s3, s7, 0
	v_max_f64 v[11:12], v[11:12], 0
	v_add_u32_e32 v46, 8, v13
	v_div_fixup_f64 v[13:14], v[1:2], s[30:31], 1.0
	v_writelane_b32 v61, s2, 20
	v_writelane_b32 v61, s3, 21
	;; [unrolled: 1-line block ×3, first 2 shown]
	s_add_u32 s68, s12, 16
	v_writelane_b32 v61, s38, 23
	s_addc_u32 s69, s13, 0
	v_writelane_b32 v61, s39, 24
	v_add_co_u32_e32 v9, vcc, 8, v9
	s_add_u32 s70, s36, 8
	s_mov_b32 s76, 0xff800000
	s_movk_i32 s2, 0x80
	v_writelane_b32 v61, s50, 25
	v_addc_co_u32_e32 v10, vcc, 0, v10, vcc
	v_sub_u32_e32 v47, v46, v45
	s_addc_u32 s71, s37, 0
	v_mov_b32_e32 v48, 0x260
	s_mov_b32 s77, 0x41dfffff
	v_mov_b32_e32 v49, 1
	v_mov_b32_e32 v50, 0x3ff00000
	;; [unrolled: 1-line block ×3, first 2 shown]
	v_cmp_gt_u32_e64 s[2:3], s2, v0
	s_brev_b32 s55, -2
	s_movk_i32 s45, 0x800
	s_mov_b32 s7, 0
	v_cmp_gt_u32_e64 s[4:5], 64, v0
	v_cmp_gt_i32_e64 s[90:91], s54, v0
	s_mov_b32 s82, s21
	v_writelane_b32 v61, s35, 26
                                        ; implicit-def: $vgpr27_vgpr28
                                        ; implicit-def: $vgpr17_vgpr18
                                        ; implicit-def: $vgpr19_vgpr20
                                        ; implicit-def: $vgpr15_vgpr16
                                        ; implicit-def: $sgpr85
	v_writelane_b32 v61, s62, 27
	s_branch .LBB4_12
.LBB4_10:                               ;   in Loop: Header=BB4_12 Depth=1
	v_readlane_b32 s8, v61, 4
	v_readlane_b32 s9, v61, 5
	s_mov_b32 s7, s18
	v_readlane_b32 s20, v61, 22
	v_readlane_b32 s38, v61, 23
	;; [unrolled: 1-line block ×4, first 2 shown]
	global_load_dword v4, v3, s[8:9] offset:-4
	v_readlane_b32 s35, v61, 26
.LBB4_11:                               ;   in Loop: Header=BB4_12 Depth=1
	s_add_i32 s82, s82, 1
	s_waitcnt vmcnt(0)
	v_cmp_ge_i32_e32 vcc, s82, v4
	s_cbranch_vccnz .LBB4_244
.LBB4_12:                               ; =>This Loop Header: Depth=1
                                        ;     Child Loop BB4_17 Depth 2
                                        ;     Child Loop BB4_22 Depth 2
                                        ;       Child Loop BB4_32 Depth 3
                                        ;       Child Loop BB4_35 Depth 3
	;; [unrolled: 1-line block ×4, first 2 shown]
                                        ;         Child Loop BB4_68 Depth 4
                                        ;         Child Loop BB4_105 Depth 4
	;; [unrolled: 1-line block ×5, first 2 shown]
                                        ;           Child Loop BB4_124 Depth 5
                                        ;         Child Loop BB4_138 Depth 4
                                        ;           Child Loop BB4_139 Depth 5
                                        ;           Child Loop BB4_141 Depth 5
                                        ;         Child Loop BB4_146 Depth 4
                                        ;       Child Loop BB4_187 Depth 3
                                        ;       Child Loop BB4_224 Depth 3
	;; [unrolled: 1-line block ×4, first 2 shown]
	s_mov_b32 s84, 0
	s_cmp_eq_u32 s82, 0
	s_mov_b64 s[8:9], 0
	v_readlane_b32 s6, v61, 7
	s_cbranch_scc1 .LBB4_14
; %bb.13:                               ;   in Loop: Header=BB4_12 Depth=1
	s_mov_b32 s83, s21
	s_lshl_b64 s[8:9], s[82:83], 2
	s_add_u32 s8, s35, s8
	s_addc_u32 s9, s6, s9
	global_load_dword v1, v3, s[8:9] offset:-4
	s_mov_b64 s[8:9], s[82:83]
	s_waitcnt vmcnt(0)
	v_readfirstlane_b32 s84, v1
.LBB4_14:                               ;   in Loop: Header=BB4_12 Depth=1
	s_lshl_b64 s[8:9], s[8:9], 2
	s_add_u32 s8, s35, s8
	s_addc_u32 s9, s6, s9
	global_load_dword v1, v3, s[8:9]
	s_not_b32 s8, s84
	s_waitcnt vmcnt(0)
	v_readfirstlane_b32 s86, v1
	s_add_i32 s88, s8, s86
	s_cmp_lt_i32 s88, 1
	s_cselect_b64 s[64:65], -1, 0
	v_subrev_u32_e32 v52, s84, v1
	s_and_b64 vcc, exec, s[64:65]
	s_cbranch_vccnz .LBB4_19
; %bb.15:                               ;   in Loop: Header=BB4_12 Depth=1
	s_ashr_i32 s85, s84, 31
	s_lshl_b64 s[10:11], s[84:85], 3
	s_add_u32 s8, s20, s10
	s_addc_u32 s9, s38, s11
	s_add_u32 s14, s39, s10
	s_addc_u32 s15, s50, s11
	s_ashr_i32 s87, s86, 31
	s_lshl_b64 s[16:17], s[86:87], 3
	s_add_u32 s18, s20, s16
	s_addc_u32 s19, s38, s17
	s_add_i32 s12, s86, -2
	s_add_u32 s16, s39, s16
	s_addc_u32 s17, s50, s17
	global_load_dwordx2 v[15:16], v3, s[8:9]
	global_load_dwordx2 v[1:2], v3, s[14:15]
	global_load_dwordx2 v[17:18], v3, s[18:19] offset:-8
	global_load_dwordx2 v[19:20], v3, s[16:17] offset:-16
	s_cmp_ge_i32 s84, s12
	s_waitcnt vmcnt(2)
	v_add_f64 v[15:16], |v[15:16]|, |v[1:2]|
	s_waitcnt vmcnt(0)
	v_add_f64 v[17:18], |v[17:18]|, |v[19:20]|
	v_cmp_lt_f64_e32 vcc, v[15:16], v[17:18]
	v_cndmask_b32_e32 v16, v16, v18, vcc
	v_cndmask_b32_e32 v15, v15, v17, vcc
	s_cbranch_scc1 .LBB4_18
; %bb.16:                               ;   in Loop: Header=BB4_12 Depth=1
	v_readlane_b32 s6, v61, 8
	s_add_u32 s8, s6, s10
	v_readlane_b32 s6, v61, 9
	s_addc_u32 s9, s6, s11
	v_readlane_b32 s6, v61, 10
	s_add_u32 s10, s6, s10
	v_readlane_b32 s6, v61, 11
	s_addc_u32 s11, s6, s11
	s_mov_b32 s13, s84
.LBB4_17:                               ;   Parent Loop BB4_12 Depth=1
                                        ; =>  This Inner Loop Header: Depth=2
	global_load_dwordx2 v[17:18], v3, s[10:11]
	s_add_i32 s13, s13, 1
	s_waitcnt vmcnt(0)
	v_add_f64 v[17:18], |v[1:2]|, |v[17:18]|
	global_load_dwordx2 v[1:2], v3, s[8:9]
	s_add_u32 s8, s8, 8
	s_addc_u32 s9, s9, 0
	s_add_u32 s10, s10, 8
	s_addc_u32 s11, s11, 0
	s_cmp_lt_i32 s13, s12
	s_waitcnt vmcnt(0)
	v_add_f64 v[17:18], v[17:18], |v[1:2]|
	v_cmp_lt_f64_e32 vcc, v[15:16], v[17:18]
	v_cndmask_b32_e32 v16, v16, v18, vcc
	v_cndmask_b32_e32 v15, v15, v17, vcc
	s_cbranch_scc1 .LBB4_17
.LBB4_18:                               ;   in Loop: Header=BB4_12 Depth=1
	v_cvt_f64_u32_e32 v[1:2], v52
	s_mov_b32 s10, 0x9999999a
	s_mov_b32 s11, 0x3fb99999
	;; [unrolled: 1-line block ×3, first 2 shown]
	v_div_scale_f64 v[17:18], s[8:9], v[1:2], v[1:2], s[10:11]
	s_mov_b32 s8, 0
	s_brev_b32 s9, 8
	v_rcp_f64_e32 v[19:20], v[17:18]
	v_fma_f64 v[21:22], -v[17:18], v[19:20], 1.0
	v_fma_f64 v[19:20], v[19:20], v[21:22], v[19:20]
	v_div_scale_f64 v[21:22], vcc, s[10:11], v[1:2], s[10:11]
	v_fma_f64 v[23:24], -v[17:18], v[19:20], 1.0
	v_fma_f64 v[19:20], v[19:20], v[23:24], v[19:20]
	v_mul_f64 v[23:24], v[21:22], v[19:20]
	v_fma_f64 v[17:18], -v[17:18], v[23:24], v[21:22]
	v_div_fmas_f64 v[17:18], v[17:18], v[19:20], v[23:24]
	v_div_fixup_f64 v[1:2], v[17:18], v[1:2], s[10:11]
	v_cmp_gt_f64_e32 vcc, s[8:9], v[1:2]
	s_and_b64 s[8:9], vcc, exec
	s_cselect_b32 s8, 0x100, 0
	v_ldexp_f64 v[1:2], v[1:2], s8
	s_cselect_b32 s8, 0xffffff80, 0
	v_rsq_f64_e32 v[17:18], v[1:2]
	v_cmp_class_f64_e32 vcc, v[1:2], v48
	v_mul_f64 v[19:20], v[1:2], v[17:18]
	v_mul_f64 v[17:18], v[17:18], 0.5
	v_fma_f64 v[21:22], -v[17:18], v[19:20], 0.5
	v_fma_f64 v[19:20], v[19:20], v[21:22], v[19:20]
	v_fma_f64 v[17:18], v[17:18], v[21:22], v[17:18]
	v_fma_f64 v[21:22], -v[19:20], v[19:20], v[1:2]
	v_fma_f64 v[19:20], v[21:22], v[17:18], v[19:20]
	v_fma_f64 v[21:22], -v[19:20], v[19:20], v[1:2]
	v_fma_f64 v[17:18], v[21:22], v[17:18], v[19:20]
	v_ldexp_f64 v[17:18], v[17:18], s8
	s_mov_b32 s8, 0xd2f1a9fc
	s_mov_b32 s9, 0x3f50624d
	v_mul_f64 v[19:20], v[15:16], s[8:9]
	v_cndmask_b32_e32 v18, v18, v2, vcc
	v_cndmask_b32_e32 v17, v17, v1, vcc
.LBB4_19:                               ;   in Loop: Header=BB4_12 Depth=1
	s_cmp_ge_i32 s7, s92
	s_cbranch_scc1 .LBB4_11
; %bb.20:                               ;   in Loop: Header=BB4_12 Depth=1
	v_cmp_gt_i32_e64 s[10:11], s88, v0
	v_writelane_b32 v61, s10, 28
	s_ashr_i32 s87, s86, 31
	v_writelane_b32 v61, s11, 29
	s_lshl_b64 s[10:11], s[86:87], 3
	s_add_u32 s10, s20, s10
	s_addc_u32 s11, s38, s11
	v_writelane_b32 v61, s10, 30
	v_writelane_b32 v61, s11, 31
	v_readlane_b32 s10, v61, 14
	v_readlane_b32 s11, v61, 15
	s_add_i32 s10, s88, s10
	v_cvt_f64_u32_e32 v[1:2], v52
	s_ashr_i32 s11, s10, 31
	s_lshl_b64 s[10:11], s[10:11], 3
	s_add_u32 s94, s36, s10
	s_mov_b32 s89, s21
	s_addc_u32 s95, s37, s11
	s_lshl_b64 s[10:11], s[88:89], 2
	v_mul_f64 v[21:22], v[15:16], v[1:2]
	v_add_u32_e32 v1, s84, v0
	s_add_u32 s34, s78, s10
	v_ashrrev_i32_e32 v2, 31, v1
	s_addc_u32 s35, s79, s11
	s_add_i32 s83, s88, -1
	s_lshl_b64 s[10:11], s[88:89], 3
	v_lshlrev_b64 v[1:2], 3, v[1:2]
	s_add_u32 s10, s40, s10
	s_addc_u32 s11, s41, s11
	v_mov_b32_e32 v4, s38
	v_add_co_u32_e32 v23, vcc, s20, v1
	v_writelane_b32 v61, s10, 32
	v_addc_co_u32_e32 v24, vcc, v4, v2, vcc
	v_writelane_b32 v61, s11, 33
	v_mov_b32_e32 v4, s50
	v_add_co_u32_e32 v25, vcc, s39, v1
	v_cmp_ge_i32_e64 s[8:9], s88, v0
	v_cmp_lt_u32_e64 s[12:13], v0, v52
	v_cmp_lt_u32_e64 s[14:15], 2, v52
	v_addc_co_u32_e32 v26, vcc, v4, v2, vcc
	s_sub_i32 s87, s86, s84
	s_mov_b32 s10, 0
	s_sub_i32 s89, 0, s84
	s_mul_i32 s11, s57, s7
	s_mov_b32 s50, s7
	v_writelane_b32 v61, s64, 34
	v_writelane_b32 v61, s65, 35
	s_branch .LBB4_22
.LBB4_21:                               ;   in Loop: Header=BB4_22 Depth=2
	s_mov_b32 s18, s50
                                        ; implicit-def: $sgpr10
                                        ; implicit-def: $sgpr11
	s_and_b64 vcc, exec, s[16:17]
	s_cbranch_vccnz .LBB4_10
.LBB4_22:                               ;   Parent Loop BB4_12 Depth=1
                                        ; =>  This Loop Header: Depth=2
                                        ;       Child Loop BB4_32 Depth 3
                                        ;       Child Loop BB4_35 Depth 3
	;; [unrolled: 1-line block ×4, first 2 shown]
                                        ;         Child Loop BB4_68 Depth 4
                                        ;         Child Loop BB4_105 Depth 4
	;; [unrolled: 1-line block ×5, first 2 shown]
                                        ;           Child Loop BB4_124 Depth 5
                                        ;         Child Loop BB4_138 Depth 4
                                        ;           Child Loop BB4_139 Depth 5
                                        ;           Child Loop BB4_141 Depth 5
                                        ;         Child Loop BB4_146 Depth 4
                                        ;       Child Loop BB4_187 Depth 3
                                        ;       Child Loop BB4_224 Depth 3
	;; [unrolled: 1-line block ×4, first 2 shown]
	s_ashr_i32 s51, s50, 31
	s_lshl_b64 s[16:17], s[50:51], 2
	s_add_u32 s16, s67, s16
	s_addc_u32 s17, s33, s17
	global_load_dword v1, v3, s[16:17]
	s_mov_b64 s[16:17], -1
	s_waitcnt vmcnt(0)
	v_add_u32_e32 v1, -1, v1
	v_cmp_ne_u32_e32 vcc, s82, v1
	s_cbranch_vccnz .LBB4_21
; %bb.23:                               ;   in Loop: Header=BB4_22 Depth=2
	s_lshl_b64 s[16:17], s[50:51], 3
	s_add_u32 s16, s62, s16
	v_readlane_b32 s6, v61, 6
	s_addc_u32 s17, s6, s17
	global_load_dwordx2 v[1:2], v3, s[16:17]
	s_mov_b64 s[16:17], -1
	s_and_b64 vcc, exec, s[64:65]
	s_cbranch_vccz .LBB4_27
; %bb.24:                               ;   in Loop: Header=BB4_22 Depth=2
	s_and_saveexec_b64 s[16:17], s[0:1]
	s_cbranch_execz .LBB4_26
; %bb.25:                               ;   in Loop: Header=BB4_22 Depth=2
	v_mov_b32_e32 v4, v50
	global_store_dwordx2 v3, v[3:4], s[36:37]
.LBB4_26:                               ;   in Loop: Header=BB4_22 Depth=2
	s_or_b64 exec, exec, s[16:17]
	s_waitcnt vmcnt(0)
	s_barrier
	s_mov_b64 s[16:17], 0
.LBB4_27:                               ;   in Loop: Header=BB4_22 Depth=2
	s_and_b64 vcc, exec, s[16:17]
	s_cbranch_vccz .LBB4_238
; %bb.28:                               ;   in Loop: Header=BB4_22 Depth=2
	s_cmp_lg_u32 s10, 0
	s_cselect_b64 s[38:39], -1, 0
	s_cmp_eq_u32 s10, 0
	s_cbranch_scc1 .LBB4_30
; %bb.29:                               ;   in Loop: Header=BB4_22 Depth=2
	s_waitcnt vmcnt(0)
	v_mul_f64 v[29:30], s[28:29], v[1:2]
	s_mov_b32 s16, 0
	s_mov_b32 s17, 0x40240000
	v_add_f64 v[31:32], v[1:2], -v[27:28]
	v_mul_f64 v[33:34], |v[29:30]|, s[16:17]
	v_fma_f64 v[29:30], |v[29:30]|, s[16:17], v[27:28]
	v_cmp_lt_f64_e32 vcc, v[31:32], v[33:34]
	v_cndmask_b32_e32 v2, v2, v30, vcc
	v_cndmask_b32_e32 v1, v1, v29, vcc
.LBB4_30:                               ;   in Loop: Header=BB4_22 Depth=2
	s_and_saveexec_b64 s[16:17], s[8:9]
	s_cbranch_execz .LBB4_33
; %bb.31:                               ;   in Loop: Header=BB4_22 Depth=2
	s_mul_i32 s18, s82, s92
	s_add_i32 s18, s50, s18
	v_lshl_or_b32 v4, s18, 8, v0
	v_add_u32_e32 v29, 1, v4
	s_mov_b32 s18, 0x40000001
	v_mul_hi_i32 v30, v29, s18
	v_sub_u32_e32 v31, 0x7ffffffe, v4
	v_sub_u32_e32 v32, 0xf7, v4
	s_mov_b32 s18, 0x7fffff07
	v_lshrrev_b32_e32 v33, 31, v30
	v_ashrrev_i32_e32 v30, 29, v30
	v_add_u32_e32 v30, v30, v33
	v_mul_lo_u32 v30, v30, s55
	v_max_u32_e32 v32, 1, v32
	v_cmp_gt_u32_e32 vcc, s18, v31
	s_mov_b32 s18, 0x7ffffffe
	v_cndmask_b32_e32 v31, v32, v31, vcc
	v_cmp_ne_u32_e32 vcc, s18, v4
	v_sub_u32_e32 v4, v29, v30
	v_mov_b32_e32 v30, v6
	v_cndmask_b32_e32 v31, 1, v31, vcc
	v_max_i32_e32 v32, 1, v4
	s_mov_b64 s[18:19], 0
	v_mov_b32_e32 v29, v5
	v_mov_b32_e32 v4, v0
.LBB4_32:                               ;   Parent Loop BB4_12 Depth=1
                                        ;     Parent Loop BB4_22 Depth=2
                                        ; =>    This Inner Loop Header: Depth=3
	s_mov_b32 s20, 0x5e4789c9
	s_mov_b32 s26, 0x4f7a09cd
	v_mul_hi_i32 v33, v32, s20
	v_mul_hi_i32 v34, v31, s26
	s_mov_b32 s27, 0xbc8f
	s_mov_b32 s51, 0x9ef4
	v_lshrrev_b32_e32 v35, 31, v33
	v_ashrrev_i32_e32 v33, 14, v33
	v_lshrrev_b32_e32 v36, 31, v34
	v_ashrrev_i32_e32 v34, 14, v34
	v_add_u32_e32 v33, v33, v35
	v_add_u32_e32 v34, v34, v36
	v_mul_i32_i24_e32 v35, 0xadc8, v33
	v_mul_i32_i24_e32 v36, 0xce26, v34
	v_sub_u32_e32 v32, v32, v35
	v_sub_u32_e32 v31, v31, v36
	v_mul_lo_u32 v32, v32, s27
	v_mul_lo_u32 v31, v31, s51
	s_movk_i32 s52, 0xf2b9
	s_movk_i32 s53, 0xf131
	v_mad_i32_i24 v32, v33, s52, v32
	v_mad_i32_i24 v31, v34, s53, v31
	v_ashrrev_i32_e32 v33, 31, v32
	v_ashrrev_i32_e32 v34, 31, v31
	v_and_b32_e32 v33, 0x7fffffff, v33
	v_and_b32_e32 v34, 0x7fffff07, v34
	v_add_u32_e32 v32, v33, v32
	v_add_u32_e32 v31, v34, v31
	v_sub_u32_e32 v33, v32, v31
	v_ashrrev_i32_e32 v34, 31, v33
	v_and_b32_e32 v34, 0x7fffffff, v34
	v_add_u32_e32 v33, v34, v33
	v_cvt_f64_i32_e32 v[33:34], v33
	v_add_u32_e32 v4, 0x100, v4
	v_div_scale_f64 v[35:36], s[26:27], s[76:77], s[76:77], v[33:34]
	v_rcp_f64_e32 v[37:38], v[35:36]
	v_fma_f64 v[39:40], -v[35:36], v[37:38], 1.0
	v_fma_f64 v[37:38], v[37:38], v[39:40], v[37:38]
	v_div_scale_f64 v[39:40], vcc, v[33:34], s[76:77], v[33:34]
	v_fma_f64 v[41:42], -v[35:36], v[37:38], 1.0
	v_fma_f64 v[37:38], v[37:38], v[41:42], v[37:38]
	v_mul_f64 v[41:42], v[39:40], v[37:38]
	v_fma_f64 v[35:36], -v[35:36], v[41:42], v[39:40]
	v_div_fmas_f64 v[35:36], v[35:36], v[37:38], v[41:42]
	v_cmp_lt_i32_e32 vcc, s88, v4
	s_or_b64 s[18:19], vcc, s[18:19]
	v_div_fixup_f64 v[33:34], v[35:36], s[76:77], v[33:34]
	global_store_dwordx2 v[29:30], v[33:34], off
	v_add_co_u32_e32 v29, vcc, 0x800, v29
	v_addc_co_u32_e32 v30, vcc, 0, v30, vcc
	s_andn2_b64 exec, exec, s[18:19]
	s_cbranch_execnz .LBB4_32
.LBB4_33:                               ;   in Loop: Header=BB4_22 Depth=2
	s_or_b64 exec, exec, s[16:17]
	s_mov_b64 s[26:27], exec
	v_readlane_b32 s16, v61, 28
	v_readlane_b32 s17, v61, 29
	s_and_b64 s[16:17], s[26:27], s[16:17]
	s_mov_b64 exec, s[16:17]
	s_cbranch_execz .LBB4_36
; %bb.34:                               ;   in Loop: Header=BB4_22 Depth=2
	v_mov_b32_e32 v30, v26
	v_mov_b32_e32 v32, v24
	;; [unrolled: 1-line block ×4, first 2 shown]
	s_mov_b64 s[60:61], 0
	v_mov_b32_e32 v29, v25
	v_mov_b32_e32 v31, v23
	;; [unrolled: 1-line block ×5, first 2 shown]
.LBB4_35:                               ;   Parent Loop BB4_12 Depth=1
                                        ;     Parent Loop BB4_22 Depth=2
                                        ; =>    This Inner Loop Header: Depth=3
	global_load_dwordx2 v[37:38], v[31:32], off
	v_add_u32_e32 v39, s59, v4
	v_ashrrev_i32_e32 v40, 31, v39
	v_add_u32_e32 v4, 0x100, v4
	v_lshlrev_b64 v[39:40], 3, v[39:40]
	v_cmp_le_i32_e32 vcc, s88, v4
	v_mov_b32_e32 v41, s37
	s_or_b64 s[60:61], vcc, s[60:61]
	v_add_co_u32_e32 v39, vcc, s36, v39
	v_addc_co_u32_e32 v40, vcc, v41, v40, vcc
	s_waitcnt vmcnt(0)
	global_store_dwordx2 v[35:36], v[37:38], off
	global_load_dwordx2 v[37:38], v[29:30], off
	v_add_co_u32_e32 v35, vcc, s45, v35
	v_addc_co_u32_e32 v36, vcc, 0, v36, vcc
	s_waitcnt vmcnt(0)
	global_store_dwordx2 v[39:40], v[37:38], off
	global_store_dwordx2 v[33:34], v[37:38], off
	v_add_co_u32_e32 v33, vcc, s45, v33
	s_mov_b64 s[16:17], vcc
	v_add_co_u32_e32 v31, vcc, 0x800, v31
	s_mov_b64 s[18:19], vcc
	v_addc_co_u32_e64 v34, vcc, 0, v34, s[16:17]
	v_add_co_u32_e32 v29, vcc, 0x800, v29
	v_addc_co_u32_e64 v32, s[16:17], 0, v32, s[18:19]
	v_addc_co_u32_e32 v30, vcc, 0, v30, vcc
	s_andn2_b64 exec, exec, s[60:61]
	s_cbranch_execnz .LBB4_35
.LBB4_36:                               ;   in Loop: Header=BB4_22 Depth=2
	s_or_b64 exec, exec, s[26:27]
	s_and_saveexec_b64 s[16:17], s[0:1]
	s_cbranch_execz .LBB4_38
; %bb.37:                               ;   in Loop: Header=BB4_22 Depth=2
	v_readlane_b32 s18, v61, 30
	v_readlane_b32 s19, v61, 31
	s_nop 4
	global_load_dwordx2 v[29:30], v3, s[18:19] offset:-8
	s_waitcnt vmcnt(0)
	global_store_dwordx2 v3, v[29:30], s[94:95]
.LBB4_38:                               ;   in Loop: Header=BB4_22 Depth=2
	s_or_b64 exec, exec, s[16:17]
	s_waitcnt vmcnt(0)
	s_barrier
	s_and_saveexec_b64 s[16:17], s[0:1]
	s_cbranch_execz .LBB4_65
; %bb.39:                               ;   in Loop: Header=BB4_22 Depth=2
	global_load_dwordx2 v[29:30], v3, s[40:41]
	v_readlane_b32 s18, v61, 20
	v_readlane_b32 s74, v61, 18
	;; [unrolled: 1-line block ×4, first 2 shown]
	s_mov_b32 s44, s7
	s_mov_b32 s7, s67
	;; [unrolled: 1-line block ×3, first 2 shown]
	s_mov_b64 s[92:93], s[90:91]
	s_mov_b64 s[90:91], s[80:81]
	s_mov_b32 s20, 1
	v_readlane_b32 s19, v61, 21
	v_readlane_b32 s75, v61, 19
	s_mov_b64 s[26:27], s[78:79]
	v_readlane_b32 s63, v61, 17
	v_readlane_b32 s61, v61, 13
	global_store_dword v3, v3, s[34:35]
	s_waitcnt vmcnt(1)
	v_add_f64 v[29:30], v[29:30], -v[1:2]
	global_store_dwordx2 v3, v[29:30], s[40:41]
	global_load_dwordx2 v[31:32], v3, s[42:43] offset:8
	s_waitcnt vmcnt(0)
	v_add_f64 v[29:30], |v[29:30]|, |v[31:32]|
	s_branch .LBB4_41
.LBB4_40:                               ;   in Loop: Header=BB4_41 Depth=3
	s_add_u32 s60, s60, 8
	s_addc_u32 s61, s61, 0
	s_add_u32 s62, s62, 8
	s_addc_u32 s63, s63, 0
	;; [unrolled: 2-line block ×4, first 2 shown]
	s_add_i32 s20, s20, 1
	s_add_u32 s18, s18, 8
	s_addc_u32 s19, s19, 0
	s_cmp_eq_u32 s87, s20
	s_cbranch_scc1 .LBB4_62
.LBB4_41:                               ;   Parent Loop BB4_12 Depth=1
                                        ;     Parent Loop BB4_22 Depth=2
                                        ; =>    This Inner Loop Header: Depth=3
	s_add_i32 s51, s20, -1
	s_add_u32 s80, s24, s18
	s_addc_u32 s81, s25, s19
	global_load_dwordx2 v[31:32], v3, s[80:81]
	s_add_u32 s66, s24, s74
	s_addc_u32 s67, s25, s75
	s_cmp_lt_u32 s51, s83
	s_cselect_b64 s[64:65], -1, 0
	s_cmp_ge_u32 s51, s83
	s_waitcnt vmcnt(0)
	v_add_f64 v[35:36], v[31:32], -v[1:2]
	global_store_dwordx2 v3, v[35:36], s[80:81]
	global_load_dwordx2 v[37:38], v3, s[66:67]
	s_waitcnt vmcnt(0)
	v_add_f64 v[31:32], |v[35:36]|, |v[37:38]|
	s_cbranch_scc1 .LBB4_43
; %bb.42:                               ;   in Loop: Header=BB4_41 Depth=3
	s_add_u32 s52, s24, s60
	s_addc_u32 s53, s25, s61
	global_load_dwordx2 v[33:34], v3, s[52:53] offset:16
	s_waitcnt vmcnt(0)
	v_add_f64 v[31:32], v[31:32], |v[33:34]|
.LBB4_43:                               ;   in Loop: Header=BB4_41 Depth=3
	global_load_dwordx2 v[41:42], v3, s[80:81] offset:-8
	s_waitcnt vmcnt(0)
	v_cmp_eq_f64_e32 vcc, 0, v[41:42]
	s_cbranch_vccnz .LBB4_54
; %bb.44:                               ;   in Loop: Header=BB4_41 Depth=3
	v_and_b32_e32 v34, 0x7fffffff, v42
	v_mov_b32_e32 v33, v41
	v_div_scale_f64 v[39:40], s[52:53], v[29:30], v[29:30], v[33:34]
	v_div_scale_f64 v[33:34], vcc, v[33:34], v[29:30], v[33:34]
	v_rcp_f64_e32 v[43:44], v[39:40]
	v_fma_f64 v[53:54], -v[39:40], v[43:44], 1.0
	v_fma_f64 v[43:44], v[43:44], v[53:54], v[43:44]
	v_fma_f64 v[53:54], -v[39:40], v[43:44], 1.0
	v_fma_f64 v[43:44], v[43:44], v[53:54], v[43:44]
	v_mul_f64 v[53:54], v[33:34], v[43:44]
	v_fma_f64 v[33:34], -v[39:40], v[53:54], v[33:34]
	v_div_fmas_f64 v[33:34], v[33:34], v[43:44], v[53:54]
	v_div_fixup_f64 v[33:34], v[33:34], v[29:30], |v[41:42]|
	v_cmp_neq_f64_e32 vcc, 0, v[37:38]
	s_cbranch_vccz .LBB4_55
.LBB4_45:                               ;   in Loop: Header=BB4_41 Depth=3
	v_and_b32_e32 v40, 0x7fffffff, v38
	v_mov_b32_e32 v39, v37
	v_div_scale_f64 v[43:44], s[52:53], v[31:32], v[31:32], v[39:40]
	v_div_scale_f64 v[39:40], vcc, v[39:40], v[31:32], v[39:40]
	s_mov_b64 s[52:53], -1
	v_rcp_f64_e32 v[53:54], v[43:44]
	v_fma_f64 v[55:56], -v[43:44], v[53:54], 1.0
	v_fma_f64 v[53:54], v[53:54], v[55:56], v[53:54]
	v_fma_f64 v[55:56], -v[43:44], v[53:54], 1.0
	v_fma_f64 v[53:54], v[53:54], v[55:56], v[53:54]
	v_mul_f64 v[55:56], v[39:40], v[53:54]
	v_fma_f64 v[39:40], -v[43:44], v[55:56], v[39:40]
	v_div_fmas_f64 v[39:40], v[39:40], v[53:54], v[55:56]
	v_div_fixup_f64 v[39:40], v[39:40], v[31:32], |v[37:38]|
	v_cmp_nle_f64_e32 vcc, v[39:40], v[33:34]
	s_cbranch_vccnz .LBB4_49
; %bb.46:                               ;   in Loop: Header=BB4_41 Depth=3
	v_div_scale_f64 v[43:44], s[52:53], v[41:42], v[41:42], v[37:38]
	s_add_u32 s52, s24, s60
	s_addc_u32 s53, s25, s61
	v_rcp_f64_e32 v[53:54], v[43:44]
	v_fma_f64 v[55:56], -v[43:44], v[53:54], 1.0
	v_fma_f64 v[53:54], v[53:54], v[55:56], v[53:54]
	v_div_scale_f64 v[55:56], vcc, v[37:38], v[41:42], v[37:38]
	v_fma_f64 v[57:58], -v[43:44], v[53:54], 1.0
	v_fma_f64 v[53:54], v[53:54], v[57:58], v[53:54]
	v_mul_f64 v[57:58], v[55:56], v[53:54]
	v_fma_f64 v[43:44], -v[43:44], v[57:58], v[55:56]
	v_div_fmas_f64 v[43:44], v[43:44], v[53:54], v[57:58]
	s_andn2_b64 vcc, exec, s[64:65]
	v_div_fixup_f64 v[43:44], v[43:44], v[41:42], v[37:38]
	global_store_dwordx2 v3, v[43:44], s[66:67]
	global_load_dwordx2 v[53:54], v3, s[80:81]
	global_load_dwordx2 v[55:56], v3, s[52:53] offset:8
	s_waitcnt vmcnt(0)
	v_fma_f64 v[43:44], -v[43:44], v[55:56], v[53:54]
	global_store_dword v3, v3, s[26:27]
	global_store_dwordx2 v3, v[43:44], s[80:81]
	s_cbranch_vccnz .LBB4_48
; %bb.47:                               ;   in Loop: Header=BB4_41 Depth=3
	s_add_u32 s52, s24, s62
	s_addc_u32 s53, s25, s63
	v_mov_b32_e32 v4, v3
	global_store_dwordx2 v3, v[3:4], s[52:53]
.LBB4_48:                               ;   in Loop: Header=BB4_41 Depth=3
	s_mov_b64 s[52:53], 0
.LBB4_49:                               ;   in Loop: Header=BB4_41 Depth=3
	v_mov_b32_e32 v44, v32
	s_andn2_b64 vcc, exec, s[52:53]
	v_mov_b32_e32 v43, v31
	s_cbranch_vccnz .LBB4_53
; %bb.50:                               ;   in Loop: Header=BB4_41 Depth=3
	v_div_scale_f64 v[43:44], s[52:53], v[37:38], v[37:38], v[41:42]
	s_add_u32 s52, s24, s60
	global_store_dwordx2 v3, v[37:38], s[80:81] offset:-8
	s_addc_u32 s53, s25, s61
	v_div_scale_f64 v[59:60], vcc, v[41:42], v[37:38], v[41:42]
	s_nop 0
	global_load_dwordx2 v[55:56], v3, s[52:53] offset:8
	v_rcp_f64_e32 v[53:54], v[43:44]
	global_store_dword v3, v49, s[26:27]
	v_fma_f64 v[57:58], -v[43:44], v[53:54], 1.0
	v_fma_f64 v[53:54], v[53:54], v[57:58], v[53:54]
	v_fma_f64 v[57:58], -v[43:44], v[53:54], 1.0
	v_fma_f64 v[53:54], v[53:54], v[57:58], v[53:54]
	v_mul_f64 v[57:58], v[59:60], v[53:54]
	v_fma_f64 v[43:44], -v[43:44], v[57:58], v[59:60]
	v_div_fmas_f64 v[43:44], v[43:44], v[53:54], v[57:58]
	s_andn2_b64 vcc, exec, s[64:65]
	v_div_fixup_f64 v[37:38], v[43:44], v[37:38], v[41:42]
	s_waitcnt vmcnt(1)
	v_fma_f64 v[41:42], -v[35:36], v[37:38], v[55:56]
	global_store_dwordx2 v3, v[41:42], s[80:81]
	s_cbranch_vccnz .LBB4_52
; %bb.51:                               ;   in Loop: Header=BB4_41 Depth=3
	global_load_dwordx2 v[41:42], v3, s[52:53] offset:16
	s_add_u32 s80, s24, s62
	s_addc_u32 s81, s25, s63
	s_waitcnt vmcnt(0)
	v_mul_f64 v[43:44], v[41:42], -v[37:38]
	global_store_dwordx2 v3, v[41:42], s[80:81]
	global_store_dwordx2 v3, v[43:44], s[52:53] offset:16
.LBB4_52:                               ;   in Loop: Header=BB4_41 Depth=3
	v_mov_b32_e32 v44, v30
	v_mov_b32_e32 v43, v29
	global_store_dwordx2 v3, v[35:36], s[52:53] offset:8
	global_store_dwordx2 v3, v[37:38], s[66:67]
.LBB4_53:                               ;   in Loop: Header=BB4_41 Depth=3
	v_mov_b32_e32 v29, v43
	v_mov_b32_e32 v30, v44
	s_cbranch_execz .LBB4_56
	s_branch .LBB4_59
.LBB4_54:                               ;   in Loop: Header=BB4_41 Depth=3
	v_mov_b32_e32 v33, 0
	v_mov_b32_e32 v34, 0
	v_cmp_neq_f64_e32 vcc, 0, v[37:38]
	s_cbranch_vccnz .LBB4_45
.LBB4_55:                               ;   in Loop: Header=BB4_41 Depth=3
                                        ; implicit-def: $vgpr39_vgpr40
                                        ; implicit-def: $vgpr29_vgpr30
.LBB4_56:                               ;   in Loop: Header=BB4_41 Depth=3
	s_andn2_b64 vcc, exec, s[64:65]
	global_store_dword v3, v3, s[26:27]
	s_cbranch_vccnz .LBB4_58
; %bb.57:                               ;   in Loop: Header=BB4_41 Depth=3
	s_add_u32 s52, s24, s62
	s_addc_u32 s53, s25, s63
	v_mov_b32_e32 v4, v3
	global_store_dwordx2 v3, v[3:4], s[52:53]
.LBB4_58:                               ;   in Loop: Header=BB4_41 Depth=3
	v_mov_b32_e32 v39, 0
	v_mov_b32_e32 v29, v31
	;; [unrolled: 1-line block ×4, first 2 shown]
.LBB4_59:                               ;   in Loop: Header=BB4_41 Depth=3
	v_max_f64 v[31:32], v[39:40], v[39:40]
	v_max_f64 v[33:34], v[33:34], v[33:34]
	;; [unrolled: 1-line block ×3, first 2 shown]
	v_cmp_nle_f64_e32 vcc, v[31:32], v[11:12]
	s_cbranch_vccnz .LBB4_40
; %bb.60:                               ;   in Loop: Header=BB4_41 Depth=3
	global_load_dword v4, v3, s[34:35]
	s_waitcnt vmcnt(0)
	v_cmp_ne_u32_e32 vcc, 0, v4
	s_cbranch_vccnz .LBB4_40
; %bb.61:                               ;   in Loop: Header=BB4_41 Depth=3
	v_mov_b32_e32 v4, s20
	global_store_dword v3, v4, s[34:35]
	s_branch .LBB4_40
.LBB4_62:                               ;   in Loop: Header=BB4_22 Depth=2
	v_readlane_b32 s18, v61, 32
	v_readlane_b32 s19, v61, 33
	v_mul_f64 v[29:30], v[11:12], v[29:30]
	s_mov_b64 s[80:81], s[90:91]
	s_mov_b64 s[90:91], s[92:93]
	s_mov_b32 s92, s6
	s_mov_b32 s67, s7
	global_load_dwordx2 v[31:32], v3, s[18:19]
	s_mov_b32 s7, s44
	s_waitcnt vmcnt(0)
	v_cmp_le_f64_e64 s[18:19], |v[31:32]|, v[29:30]
	s_and_b64 vcc, exec, s[18:19]
	s_cbranch_vccz .LBB4_65
; %bb.63:                               ;   in Loop: Header=BB4_22 Depth=2
	global_load_dword v4, v3, s[34:35]
	s_waitcnt vmcnt(0)
	v_cmp_ne_u32_e32 vcc, 0, v4
	s_cbranch_vccnz .LBB4_65
; %bb.64:                               ;   in Loop: Header=BB4_22 Depth=2
	global_store_dword v3, v52, s[34:35]
.LBB4_65:                               ;   in Loop: Header=BB4_22 Depth=2
	s_or_b64 exec, exec, s[16:17]
	v_add_f64 v[27:28], v[1:2], -v[27:28]
	s_mov_b32 s51, 0
	s_mov_b32 s62, 0
	v_cmp_gt_f64_e64 s[74:75], |v[27:28]|, v[19:20]
.LBB4_66:                               ;   Parent Loop BB4_12 Depth=1
                                        ;     Parent Loop BB4_22 Depth=2
                                        ; =>    This Loop Header: Depth=3
                                        ;         Child Loop BB4_68 Depth 4
                                        ;         Child Loop BB4_105 Depth 4
                                        ;         Child Loop BB4_108 Depth 4
                                        ;         Child Loop BB4_111 Depth 4
                                        ;         Child Loop BB4_118 Depth 4
                                        ;           Child Loop BB4_124 Depth 5
                                        ;         Child Loop BB4_138 Depth 4
                                        ;           Child Loop BB4_139 Depth 5
                                        ;           Child Loop BB4_141 Depth 5
                                        ;         Child Loop BB4_146 Depth 4
	v_mov_b32_e32 v27, 0
	v_mov_b32_e32 v28, 0
	v_bfrev_b32_e32 v4, -2
	s_and_saveexec_b64 s[26:27], s[12:13]
	s_cbranch_execz .LBB4_70
; %bb.67:                               ;   in Loop: Header=BB4_66 Depth=3
	v_mov_b32_e32 v27, 0
	v_mov_b32_e32 v30, v6
	;; [unrolled: 1-line block ×3, first 2 shown]
	v_bfrev_b32_e32 v4, -2
	s_mov_b64 s[60:61], 0
	v_mov_b32_e32 v29, v5
	v_mov_b32_e32 v31, v0
.LBB4_68:                               ;   Parent Loop BB4_12 Depth=1
                                        ;     Parent Loop BB4_22 Depth=2
                                        ;       Parent Loop BB4_66 Depth=3
                                        ; =>      This Inner Loop Header: Depth=4
	global_load_dwordx2 v[32:33], v[29:30], off
	v_add_co_u32_e32 v29, vcc, 0x800, v29
	v_cmp_eq_u32_e64 s[16:17], s55, v4
	v_add_u32_e32 v34, 1, v31
	v_add_u32_e32 v31, 0x100, v31
	v_addc_co_u32_e32 v30, vcc, 0, v30, vcc
	v_cmp_ge_u32_e64 s[18:19], v31, v52
	s_waitcnt vmcnt(0)
	v_cmp_lt_f64_e64 s[52:53], v[27:28], |v[32:33]|
	v_and_b32_e32 v33, 0x7fffffff, v33
	s_or_b64 vcc, s[52:53], s[16:17]
	v_cndmask_b32_e32 v28, v28, v33, vcc
	v_cndmask_b32_e32 v27, v27, v32, vcc
	s_or_b64 s[60:61], s[18:19], s[60:61]
	v_cndmask_b32_e32 v4, v4, v34, vcc
	s_andn2_b64 exec, exec, s[60:61]
	s_cbranch_execnz .LBB4_68
; %bb.69:                               ;   in Loop: Header=BB4_66 Depth=3
	s_or_b64 exec, exec, s[60:61]
.LBB4_70:                               ;   in Loop: Header=BB4_66 Depth=3
	s_or_b64 exec, exec, s[26:27]
	ds_write_b64 v46, v[27:28]
	ds_write_b32 v47, v4 offset:4096
	s_waitcnt vmcnt(0) lgkmcnt(0)
	s_barrier
	s_and_saveexec_b64 s[18:19], s[2:3]
	s_cbranch_execz .LBB4_76
; %bb.71:                               ;   in Loop: Header=BB4_66 Depth=3
	ds_read_b64 v[29:30], v46 offset:1024
	ds_read_b32 v31, v47 offset:4608
	s_waitcnt lgkmcnt(1)
	v_cmp_lt_f64_e64 s[26:27], v[27:28], v[29:30]
	v_cmp_nlt_f64_e32 vcc, v[27:28], v[29:30]
	s_and_saveexec_b64 s[52:53], vcc
	s_cbranch_execz .LBB4_73
; %bb.72:                               ;   in Loop: Header=BB4_66 Depth=3
	v_cmp_eq_f64_e32 vcc, v[27:28], v[29:30]
	s_waitcnt lgkmcnt(0)
	v_cmp_gt_i32_e64 s[16:17], v4, v31
	s_andn2_b64 s[26:27], s[26:27], exec
	s_and_b64 s[16:17], vcc, s[16:17]
	s_and_b64 s[16:17], s[16:17], exec
	s_or_b64 s[26:27], s[26:27], s[16:17]
.LBB4_73:                               ;   in Loop: Header=BB4_66 Depth=3
	s_or_b64 exec, exec, s[52:53]
	s_and_saveexec_b64 s[16:17], s[26:27]
	s_cbranch_execz .LBB4_75
; %bb.74:                               ;   in Loop: Header=BB4_66 Depth=3
	v_mov_b32_e32 v27, v29
	s_waitcnt lgkmcnt(0)
	v_mov_b32_e32 v4, v31
	v_mov_b32_e32 v28, v30
	ds_write_b64 v46, v[29:30]
	ds_write_b32 v47, v31 offset:4096
.LBB4_75:                               ;   in Loop: Header=BB4_66 Depth=3
	s_or_b64 exec, exec, s[16:17]
.LBB4_76:                               ;   in Loop: Header=BB4_66 Depth=3
	s_or_b64 exec, exec, s[18:19]
	s_waitcnt lgkmcnt(0)
	s_barrier
	s_and_saveexec_b64 s[26:27], s[4:5]
	s_cbranch_execz .LBB4_103
; %bb.77:                               ;   in Loop: Header=BB4_66 Depth=3
	ds_read_b64 v[29:30], v46 offset:512
	ds_read_b32 v31, v47 offset:4352
	s_waitcnt lgkmcnt(1)
	v_cmp_lt_f64_e64 s[18:19], v[27:28], v[29:30]
	v_cmp_nlt_f64_e32 vcc, v[27:28], v[29:30]
	s_and_saveexec_b64 s[52:53], vcc
	s_cbranch_execz .LBB4_79
; %bb.78:                               ;   in Loop: Header=BB4_66 Depth=3
	v_cmp_eq_f64_e32 vcc, v[27:28], v[29:30]
	s_waitcnt lgkmcnt(0)
	v_cmp_gt_i32_e64 s[16:17], v4, v31
	s_andn2_b64 s[18:19], s[18:19], exec
	s_and_b64 s[16:17], vcc, s[16:17]
	s_and_b64 s[16:17], s[16:17], exec
	s_or_b64 s[18:19], s[18:19], s[16:17]
.LBB4_79:                               ;   in Loop: Header=BB4_66 Depth=3
	s_or_b64 exec, exec, s[52:53]
	s_and_saveexec_b64 s[16:17], s[18:19]
	s_cbranch_execz .LBB4_81
; %bb.80:                               ;   in Loop: Header=BB4_66 Depth=3
	v_mov_b32_e32 v27, v29
	v_mov_b32_e32 v28, v30
	s_waitcnt lgkmcnt(0)
	v_mov_b32_e32 v4, v31
	ds_write_b64 v46, v[29:30]
	ds_write_b32 v47, v31 offset:4096
.LBB4_81:                               ;   in Loop: Header=BB4_66 Depth=3
	s_or_b64 exec, exec, s[16:17]
	ds_read_b64 v[29:30], v46 offset:256
	s_waitcnt lgkmcnt(1)
	ds_read_b32 v31, v47 offset:4224
	s_waitcnt lgkmcnt(1)
	v_cmp_lt_f64_e64 s[18:19], v[27:28], v[29:30]
	v_cmp_nlt_f64_e32 vcc, v[27:28], v[29:30]
	s_and_saveexec_b64 s[52:53], vcc
	s_cbranch_execz .LBB4_83
; %bb.82:                               ;   in Loop: Header=BB4_66 Depth=3
	v_cmp_eq_f64_e32 vcc, v[27:28], v[29:30]
	s_waitcnt lgkmcnt(0)
	v_cmp_gt_i32_e64 s[16:17], v4, v31
	s_andn2_b64 s[18:19], s[18:19], exec
	s_and_b64 s[16:17], vcc, s[16:17]
	s_and_b64 s[16:17], s[16:17], exec
	s_or_b64 s[18:19], s[18:19], s[16:17]
.LBB4_83:                               ;   in Loop: Header=BB4_66 Depth=3
	s_or_b64 exec, exec, s[52:53]
	s_and_saveexec_b64 s[16:17], s[18:19]
	s_cbranch_execz .LBB4_85
; %bb.84:                               ;   in Loop: Header=BB4_66 Depth=3
	v_mov_b32_e32 v27, v29
	v_mov_b32_e32 v28, v30
	s_waitcnt lgkmcnt(0)
	v_mov_b32_e32 v4, v31
	ds_write_b64 v46, v[29:30]
	ds_write_b32 v47, v31 offset:4096
.LBB4_85:                               ;   in Loop: Header=BB4_66 Depth=3
	s_or_b64 exec, exec, s[16:17]
	ds_read_b64 v[29:30], v46 offset:128
	s_waitcnt lgkmcnt(1)
	;; [unrolled: 29-line block ×5, first 2 shown]
	ds_read_b32 v31, v47 offset:4104
	s_waitcnt lgkmcnt(1)
	v_cmp_lt_f64_e64 s[18:19], v[27:28], v[29:30]
	v_cmp_nlt_f64_e32 vcc, v[27:28], v[29:30]
	s_and_saveexec_b64 s[52:53], vcc
	s_cbranch_execz .LBB4_99
; %bb.98:                               ;   in Loop: Header=BB4_66 Depth=3
	v_cmp_eq_f64_e32 vcc, v[27:28], v[29:30]
	s_waitcnt lgkmcnt(0)
	v_cmp_gt_i32_e64 s[16:17], v4, v31
	s_andn2_b64 s[18:19], s[18:19], exec
	s_and_b64 s[16:17], vcc, s[16:17]
	s_and_b64 s[16:17], s[16:17], exec
	s_or_b64 s[18:19], s[18:19], s[16:17]
.LBB4_99:                               ;   in Loop: Header=BB4_66 Depth=3
	s_or_b64 exec, exec, s[52:53]
	s_and_saveexec_b64 s[16:17], s[18:19]
	s_cbranch_execz .LBB4_101
; %bb.100:                              ;   in Loop: Header=BB4_66 Depth=3
	v_mov_b32_e32 v27, v29
	v_mov_b32_e32 v28, v30
	s_waitcnt lgkmcnt(0)
	v_mov_b32_e32 v4, v31
	ds_write_b64 v46, v[29:30]
	ds_write_b32 v47, v31 offset:4096
.LBB4_101:                              ;   in Loop: Header=BB4_66 Depth=3
	s_or_b64 exec, exec, s[16:17]
	ds_read_b64 v[29:30], v46 offset:8
	s_waitcnt lgkmcnt(0)
	v_cmp_eq_f64_e32 vcc, v[27:28], v[29:30]
	v_cmp_lt_f64_e64 s[16:17], v[27:28], v[29:30]
	ds_read_b32 v27, v47 offset:4100
	s_waitcnt lgkmcnt(0)
	v_cmp_gt_i32_e64 s[18:19], v4, v27
	s_and_b64 s[18:19], vcc, s[18:19]
	s_or_b64 s[16:17], s[16:17], s[18:19]
	s_and_b64 exec, exec, s[16:17]
	s_cbranch_execz .LBB4_103
; %bb.102:                              ;   in Loop: Header=BB4_66 Depth=3
	ds_write_b64 v46, v[29:30]
	ds_write_b32 v47, v27 offset:4096
.LBB4_103:                              ;   in Loop: Header=BB4_66 Depth=3
	s_or_b64 exec, exec, s[26:27]
	s_waitcnt lgkmcnt(0)
	s_barrier
	s_and_saveexec_b64 s[16:17], s[8:9]
	s_cbranch_execz .LBB4_106
; %bb.104:                              ;   in Loop: Header=BB4_66 Depth=3
	global_load_dwordx2 v[27:28], v3, s[94:95]
	v_mov_b32_e32 v4, s29
	v_mov_b32_e32 v30, s28
	s_waitcnt vmcnt(0)
	v_cmp_lt_f64_e64 vcc, s[28:29], |v[27:28]|
	v_and_b32_e32 v29, 0x7fffffff, v28
	v_cndmask_b32_e32 v28, v4, v29, vcc
	v_cndmask_b32_e32 v27, v30, v27, vcc
	v_mul_f64 v[27:28], v[21:22], v[27:28]
	ds_read_b64 v[29:30], v51
	v_mov_b32_e32 v4, v0
	s_waitcnt lgkmcnt(0)
	v_div_scale_f64 v[31:32], s[18:19], v[29:30], v[29:30], v[27:28]
	v_div_scale_f64 v[37:38], vcc, v[27:28], v[29:30], v[27:28]
	s_mov_b64 s[18:19], 0
	v_rcp_f64_e32 v[33:34], v[31:32]
	v_fma_f64 v[35:36], -v[31:32], v[33:34], 1.0
	v_fma_f64 v[33:34], v[33:34], v[35:36], v[33:34]
	v_fma_f64 v[35:36], -v[31:32], v[33:34], 1.0
	v_fma_f64 v[33:34], v[33:34], v[35:36], v[33:34]
	v_mul_f64 v[35:36], v[37:38], v[33:34]
	v_fma_f64 v[31:32], -v[31:32], v[35:36], v[37:38]
	v_div_fmas_f64 v[31:32], v[31:32], v[33:34], v[35:36]
	v_div_fixup_f64 v[27:28], v[31:32], v[29:30], v[27:28]
	v_mov_b32_e32 v30, v6
	v_mov_b32_e32 v29, v5
.LBB4_105:                              ;   Parent Loop BB4_12 Depth=1
                                        ;     Parent Loop BB4_22 Depth=2
                                        ;       Parent Loop BB4_66 Depth=3
                                        ; =>      This Inner Loop Header: Depth=4
	global_load_dwordx2 v[31:32], v[29:30], off
	v_add_u32_e32 v4, 0x100, v4
	v_cmp_lt_i32_e32 vcc, s88, v4
	s_or_b64 s[18:19], vcc, s[18:19]
	s_waitcnt vmcnt(0)
	v_mul_f64 v[31:32], v[27:28], v[31:32]
	global_store_dwordx2 v[29:30], v[31:32], off
	v_add_co_u32_e32 v29, vcc, 0x800, v29
	v_addc_co_u32_e32 v30, vcc, 0, v30, vcc
	s_andn2_b64 exec, exec, s[18:19]
	s_cbranch_execnz .LBB4_105
.LBB4_106:                              ;   in Loop: Header=BB4_66 Depth=3
	s_or_b64 exec, exec, s[16:17]
	s_waitcnt vmcnt(0)
	s_barrier
	s_and_saveexec_b64 s[18:19], s[0:1]
	s_cbranch_execz .LBB4_134
; %bb.107:                              ;   in Loop: Header=BB4_66 Depth=3
	global_load_dwordx4 v[27:30], v3, s[40:41]
	global_load_dwordx2 v[31:32], v3, s[42:43] offset:8
	s_andn2_b64 vcc, exec, s[14:15]
	s_mov_b64 s[16:17], s[48:49]
	s_mov_b64 s[26:27], s[68:69]
	s_mov_b32 s20, s83
	s_waitcnt vmcnt(1)
	v_max_f64 v[29:30], |v[29:30]|, |v[29:30]|
	s_waitcnt vmcnt(0)
	v_max_f64 v[31:32], |v[31:32]|, |v[31:32]|
	v_max_f64 v[27:28], |v[27:28]|, |v[27:28]|
	v_max_f64 v[29:30], v[29:30], v[31:32]
	v_max_f64 v[27:28], v[27:28], v[29:30]
	s_cbranch_vccnz .LBB4_109
.LBB4_108:                              ;   Parent Loop BB4_12 Depth=1
                                        ;     Parent Loop BB4_22 Depth=2
                                        ;       Parent Loop BB4_66 Depth=3
                                        ; =>      This Inner Loop Header: Depth=4
	s_add_u32 s52, s26, s73
	s_addc_u32 s53, s27, s58
	global_load_dwordx2 v[29:30], v3, s[26:27]
	global_load_dwordx2 v[31:32], v3, s[16:17]
	;; [unrolled: 1-line block ×3, first 2 shown]
	v_max_f64 v[27:28], v[27:28], v[27:28]
	s_add_i32 s20, s20, -1
	s_add_u32 s26, s26, 8
	s_addc_u32 s27, s27, 0
	s_add_u32 s16, s16, 8
	s_addc_u32 s17, s17, 0
	s_cmp_lg_u32 s20, 0
	s_waitcnt vmcnt(2)
	v_max_f64 v[29:30], |v[29:30]|, |v[29:30]|
	s_waitcnt vmcnt(1)
	v_max_f64 v[31:32], |v[31:32]|, |v[31:32]|
	s_waitcnt vmcnt(0)
	v_max_f64 v[33:34], |v[33:34]|, |v[33:34]|
	v_max_f64 v[27:28], v[27:28], v[29:30]
	v_max_f64 v[29:30], v[33:34], v[31:32]
	v_max_f64 v[27:28], v[27:28], v[29:30]
	s_cbranch_scc1 .LBB4_108
.LBB4_109:                              ;   in Loop: Header=BB4_66 Depth=3
	s_mov_b32 s20, s88
	s_mov_b64 s[16:17], s[78:79]
	s_mov_b64 s[26:27], s[46:47]
	;; [unrolled: 1-line block ×3, first 2 shown]
	s_branch .LBB4_111
.LBB4_110:                              ;   in Loop: Header=BB4_111 Depth=4
	s_add_u32 s60, s60, 8
	s_addc_u32 s61, s61, 0
	s_add_u32 s26, s26, 8
	s_addc_u32 s27, s27, 0
	;; [unrolled: 2-line block ×3, first 2 shown]
	s_add_i32 s20, s20, -1
	s_cmp_lg_u32 s20, 0
	s_cbranch_scc0 .LBB4_115
.LBB4_111:                              ;   Parent Loop BB4_12 Depth=1
                                        ;     Parent Loop BB4_22 Depth=2
                                        ;       Parent Loop BB4_66 Depth=3
                                        ; =>      This Inner Loop Header: Depth=4
	global_load_dword v4, v3, s[16:17]
	s_waitcnt vmcnt(0)
	v_cmp_ne_u32_e32 vcc, 0, v4
	s_cbranch_vccz .LBB4_113
; %bb.112:                              ;   in Loop: Header=BB4_111 Depth=4
	global_load_dwordx4 v[29:32], v3, s[60:61] offset:-8
	s_waitcnt vmcnt(0)
	global_store_dwordx2 v3, v[31:32], s[60:61] offset:-8
	global_load_dwordx2 v[33:34], v3, s[26:27]
	s_waitcnt vmcnt(0)
	v_fma_f64 v[29:30], -v[31:32], v[33:34], v[29:30]
	global_store_dwordx2 v3, v[29:30], s[60:61]
	s_cbranch_execnz .LBB4_110
	s_branch .LBB4_114
.LBB4_113:                              ;   in Loop: Header=BB4_111 Depth=4
.LBB4_114:                              ;   in Loop: Header=BB4_111 Depth=4
	global_load_dwordx4 v[29:32], v3, s[60:61] offset:-8
	global_load_dwordx2 v[33:34], v3, s[26:27]
	s_waitcnt vmcnt(0)
	v_fma_f64 v[29:30], -v[33:34], v[29:30], v[31:32]
	global_store_dwordx2 v3, v[29:30], s[60:61]
	s_branch .LBB4_110
.LBB4_115:                              ;   in Loop: Header=BB4_66 Depth=3
	v_mul_f64 v[27:28], s[28:29], v[27:28]
	v_cmp_eq_f64_e32 vcc, 0, v[27:28]
	v_readfirstlane_b32 s20, v28
	v_readfirstlane_b32 s26, v27
	s_and_b64 s[16:17], vcc, exec
	s_cselect_b32 s63, s29, s20
	s_cselect_b32 s64, s28, s26
	s_and_b32 s65, s63, 0x7fffffff
	s_mov_b32 s66, s64
	s_mov_b32 s20, s88
	s_branch .LBB4_118
.LBB4_116:                              ;   in Loop: Header=BB4_118 Depth=4
	v_mov_b32_e32 v29, v37
	v_mov_b32_e32 v30, v38
.LBB4_117:                              ;   in Loop: Header=BB4_118 Depth=4
	v_div_scale_f64 v[31:32], s[16:17], v[29:30], v[29:30], v[27:28]
	s_add_i32 s16, s20, -1
	s_cmp_gt_i32 s20, 0
	s_mov_b32 s20, s16
	v_rcp_f64_e32 v[33:34], v[31:32]
	v_fma_f64 v[35:36], -v[31:32], v[33:34], 1.0
	v_fma_f64 v[33:34], v[33:34], v[35:36], v[33:34]
	v_div_scale_f64 v[35:36], vcc, v[27:28], v[29:30], v[27:28]
	v_fma_f64 v[37:38], -v[31:32], v[33:34], 1.0
	v_fma_f64 v[33:34], v[33:34], v[37:38], v[33:34]
	v_mul_f64 v[37:38], v[35:36], v[33:34]
	v_fma_f64 v[31:32], -v[31:32], v[37:38], v[35:36]
	v_div_fmas_f64 v[31:32], v[31:32], v[33:34], v[37:38]
	v_div_fixup_f64 v[27:28], v[31:32], v[29:30], v[27:28]
	global_store_dwordx2 v3, v[27:28], s[26:27]
	s_cbranch_scc0 .LBB4_134
.LBB4_118:                              ;   Parent Loop BB4_12 Depth=1
                                        ;     Parent Loop BB4_22 Depth=2
                                        ;       Parent Loop BB4_66 Depth=3
                                        ; =>      This Loop Header: Depth=4
                                        ;           Child Loop BB4_124 Depth 5
	s_lshl_b64 s[16:17], s[20:21], 3
	s_add_u32 s26, s36, s16
	s_addc_u32 s27, s37, s17
	global_load_dwordx2 v[27:28], v3, s[26:27]
	s_cmp_ge_i32 s20, s88
	s_cbranch_scc1 .LBB4_120
; %bb.119:                              ;   in Loop: Header=BB4_118 Depth=4
	s_add_u32 s52, s42, s16
	s_addc_u32 s53, s43, s17
	global_load_dwordx2 v[29:30], v3, s[52:53] offset:8
	global_load_dwordx2 v[31:32], v3, s[26:27] offset:8
	s_waitcnt vmcnt(0)
	v_fma_f64 v[27:28], -v[29:30], v[31:32], v[27:28]
.LBB4_120:                              ;   in Loop: Header=BB4_118 Depth=4
	s_cmp_ge_i32 s20, s83
	s_cbranch_scc1 .LBB4_122
; %bb.121:                              ;   in Loop: Header=BB4_118 Depth=4
	s_add_u32 s52, s48, s16
	s_addc_u32 s53, s49, s17
	global_load_dwordx2 v[29:30], v3, s[52:53]
	global_load_dwordx2 v[31:32], v3, s[26:27] offset:16
	s_waitcnt vmcnt(0)
	v_fma_f64 v[27:28], -v[29:30], v[31:32], v[27:28]
.LBB4_122:                              ;   in Loop: Header=BB4_118 Depth=4
	s_add_u32 s16, s40, s16
	s_addc_u32 s17, s41, s17
	global_load_dwordx2 v[29:30], v3, s[16:17]
	s_waitcnt vmcnt(0)
	v_cmp_nlt_f64_e64 s[16:17], |v[29:30]|, 1.0
	s_and_b64 vcc, exec, s[16:17]
	s_cbranch_vccnz .LBB4_117
; %bb.123:                              ;   in Loop: Header=BB4_118 Depth=4
	v_cmp_nle_f64_e32 vcc, 0, v[29:30]
	v_mul_f64 v[31:32], s[30:31], |v[27:28]|
	s_xor_b32 s52, s65, 0x80000000
	s_and_b32 s53, s63, 0x7fffffff
	v_and_b32_e32 v36, 0x7fffffff, v30
	v_mov_b32_e32 v35, v29
	s_and_b64 s[16:17], vcc, exec
	s_cselect_b32 s17, s52, s53
	s_cselect_b32 s16, s66, s64
	v_mov_b32_e32 v34, s17
	v_mov_b32_e32 v33, s16
.LBB4_124:                              ;   Parent Loop BB4_12 Depth=1
                                        ;     Parent Loop BB4_22 Depth=2
                                        ;       Parent Loop BB4_66 Depth=3
                                        ;         Parent Loop BB4_118 Depth=4
                                        ; =>        This Inner Loop Header: Depth=5
	v_cmp_ngt_f64_e32 vcc, s[30:31], v[35:36]
	s_mov_b64 s[16:17], -1
	s_mov_b64 s[52:53], 0
	s_mov_b64 s[60:61], -1
	s_cbranch_vccnz .LBB4_128
; %bb.125:                              ;   in Loop: Header=BB4_124 Depth=5
	s_andn2_b64 vcc, exec, s[60:61]
	s_cbranch_vccz .LBB4_129
.LBB4_126:                              ;   in Loop: Header=BB4_124 Depth=5
	s_andn2_b64 vcc, exec, s[52:53]
	s_cbranch_vccnz .LBB4_130
.LBB4_127:                              ;   in Loop: Header=BB4_124 Depth=5
	v_add_f64 v[37:38], v[29:30], v[33:34]
	v_add_f64 v[33:34], v[33:34], v[33:34]
	s_mov_b64 s[16:17], -1
	v_cmp_nlt_f64_e64 s[52:53], |v[37:38]|, 1.0
	v_and_b32_e32 v36, 0x7fffffff, v38
	v_mov_b32_e32 v35, v37
	s_andn2_b64 vcc, exec, s[52:53]
	s_cbranch_vccnz .LBB4_131
	s_branch .LBB4_132
.LBB4_128:                              ;   in Loop: Header=BB4_124 Depth=5
	v_mul_f64 v[37:38], v[13:14], v[35:36]
	v_cmp_gt_f64_e64 s[52:53], |v[27:28]|, v[37:38]
	s_cbranch_execnz .LBB4_126
.LBB4_129:                              ;   in Loop: Header=BB4_124 Depth=5
	v_cmp_eq_f64_e32 vcc, 0, v[29:30]
	v_cmp_gt_f64_e64 s[16:17], v[31:32], v[35:36]
	s_or_b64 s[52:53], vcc, s[16:17]
	s_mov_b64 s[16:17], 0
	s_andn2_b64 vcc, exec, s[52:53]
	s_cbranch_vccz .LBB4_127
.LBB4_130:                              ;   in Loop: Header=BB4_118 Depth=4
	v_mov_b32_e32 v38, v30
                                        ; implicit-def: $vgpr33_vgpr34
                                        ; implicit-def: $vgpr35_vgpr36
	v_mov_b32_e32 v37, v29
	s_branch .LBB4_132
.LBB4_131:                              ;   in Loop: Header=BB4_124 Depth=5
	v_mov_b32_e32 v29, v37
	v_mov_b32_e32 v30, v38
	s_branch .LBB4_124
.LBB4_132:                              ;   in Loop: Header=BB4_118 Depth=4
	s_andn2_b64 vcc, exec, s[16:17]
	s_cbranch_vccz .LBB4_116
; %bb.133:                              ;   in Loop: Header=BB4_118 Depth=4
	v_mul_f64 v[27:28], v[13:14], v[27:28]
	v_mul_f64 v[37:38], v[13:14], v[29:30]
	s_branch .LBB4_116
.LBB4_134:                              ;   in Loop: Header=BB4_66 Depth=3
	s_or_b64 exec, exec, s[18:19]
	s_andn2_b64 vcc, exec, s[38:39]
	s_waitcnt vmcnt(0)
	s_barrier
	s_cbranch_vccnz .LBB4_144
; %bb.135:                              ;   in Loop: Header=BB4_66 Depth=3
	s_and_b64 s[16:17], s[74:75], exec
	s_cselect_b32 s20, s50, s85
	s_cmp_eq_u32 s20, s50
	s_mov_b32 s85, s50
	s_cbranch_scc1 .LBB4_144
; %bb.136:                              ;   in Loop: Header=BB4_66 Depth=3
	s_cmp_lt_i32 s20, s50
	s_cselect_b64 s[16:17], -1, 0
	s_and_b64 s[18:19], s[0:1], s[16:17]
	s_and_saveexec_b64 s[16:17], s[18:19]
	s_cbranch_execz .LBB4_143
; %bb.137:                              ;   in Loop: Header=BB4_66 Depth=3
	s_mul_i32 s18, s57, s20
	s_add_i32 s52, s84, s18
	s_mov_b32 s53, s20
.LBB4_138:                              ;   Parent Loop BB4_12 Depth=1
                                        ;     Parent Loop BB4_22 Depth=2
                                        ;       Parent Loop BB4_66 Depth=3
                                        ; =>      This Loop Header: Depth=4
                                        ;           Child Loop BB4_139 Depth 5
                                        ;           Child Loop BB4_141 Depth 5
	v_mov_b32_e32 v27, 0
	v_mov_b32_e32 v28, 0
	s_mov_b64 s[18:19], s[36:37]
	s_mov_b32 s26, s52
	s_mov_b32 s60, s87
.LBB4_139:                              ;   Parent Loop BB4_12 Depth=1
                                        ;     Parent Loop BB4_22 Depth=2
                                        ;       Parent Loop BB4_66 Depth=3
                                        ;         Parent Loop BB4_138 Depth=4
                                        ; =>        This Inner Loop Header: Depth=5
	s_ashr_i32 s27, s26, 31
	s_lshl_b64 s[64:65], s[26:27], 4
	s_add_u32 s64, s56, s64
	s_addc_u32 s65, s72, s65
	global_load_dwordx2 v[29:30], v3, s[18:19]
	global_load_dwordx2 v[31:32], v3, s[64:65]
	s_add_i32 s60, s60, -1
	s_add_i32 s26, s26, 1
	s_add_u32 s18, s18, 8
	s_addc_u32 s19, s19, 0
	s_cmp_lg_u32 s60, 0
	s_waitcnt vmcnt(0)
	v_fma_f64 v[27:28], v[29:30], v[31:32], v[27:28]
	s_cbranch_scc1 .LBB4_139
; %bb.140:                              ;   in Loop: Header=BB4_138 Depth=4
	s_mov_b32 s26, 0
	s_mov_b64 s[18:19], s[36:37]
.LBB4_141:                              ;   Parent Loop BB4_12 Depth=1
                                        ;     Parent Loop BB4_22 Depth=2
                                        ;       Parent Loop BB4_66 Depth=3
                                        ;         Parent Loop BB4_138 Depth=4
                                        ; =>        This Inner Loop Header: Depth=5
	s_add_i32 s60, s52, s26
	s_ashr_i32 s61, s60, 31
	s_lshl_b64 s[60:61], s[60:61], 4
	s_add_u32 s60, s56, s60
	s_addc_u32 s61, s72, s61
	global_load_dwordx2 v[29:30], v3, s[18:19]
	global_load_dwordx2 v[31:32], v3, s[60:61]
	s_add_i32 s26, s26, 1
	s_waitcnt vmcnt(0)
	v_fma_f64 v[29:30], -v[27:28], v[31:32], v[29:30]
	global_store_dwordx2 v3, v[29:30], s[18:19]
	s_add_u32 s18, s18, 8
	s_addc_u32 s19, s19, 0
	s_cmp_lg_u32 s87, s26
	s_cbranch_scc1 .LBB4_141
; %bb.142:                              ;   in Loop: Header=BB4_138 Depth=4
	s_add_i32 s53, s53, 1
	s_add_i32 s52, s52, s57
	s_cmp_lt_i32 s53, s50
	s_cbranch_scc1 .LBB4_138
.LBB4_143:                              ;   in Loop: Header=BB4_66 Depth=3
	s_or_b64 exec, exec, s[16:17]
	s_mov_b32 s85, s20
	s_waitcnt vmcnt(0)
	s_barrier
.LBB4_144:                              ;   in Loop: Header=BB4_66 Depth=3
	v_mov_b32_e32 v27, 0
	v_mov_b32_e32 v28, 0
	v_bfrev_b32_e32 v4, -2
	s_and_saveexec_b64 s[26:27], s[12:13]
	s_cbranch_execz .LBB4_148
; %bb.145:                              ;   in Loop: Header=BB4_66 Depth=3
	v_mov_b32_e32 v27, 0
	v_mov_b32_e32 v30, v6
	v_mov_b32_e32 v28, 0
	v_bfrev_b32_e32 v4, -2
	s_mov_b64 s[60:61], 0
	v_mov_b32_e32 v29, v5
	v_mov_b32_e32 v31, v0
.LBB4_146:                              ;   Parent Loop BB4_12 Depth=1
                                        ;     Parent Loop BB4_22 Depth=2
                                        ;       Parent Loop BB4_66 Depth=3
                                        ; =>      This Inner Loop Header: Depth=4
	global_load_dwordx2 v[32:33], v[29:30], off
	v_add_co_u32_e32 v29, vcc, 0x800, v29
	v_cmp_eq_u32_e64 s[16:17], s55, v4
	v_add_u32_e32 v34, 1, v31
	v_add_u32_e32 v31, 0x100, v31
	v_addc_co_u32_e32 v30, vcc, 0, v30, vcc
	v_cmp_ge_u32_e64 s[18:19], v31, v52
	s_waitcnt vmcnt(0)
	v_cmp_lt_f64_e64 s[52:53], v[27:28], |v[32:33]|
	v_and_b32_e32 v33, 0x7fffffff, v33
	s_or_b64 vcc, s[52:53], s[16:17]
	v_cndmask_b32_e32 v28, v28, v33, vcc
	v_cndmask_b32_e32 v27, v27, v32, vcc
	s_or_b64 s[60:61], s[18:19], s[60:61]
	v_cndmask_b32_e32 v4, v4, v34, vcc
	s_andn2_b64 exec, exec, s[60:61]
	s_cbranch_execnz .LBB4_146
; %bb.147:                              ;   in Loop: Header=BB4_66 Depth=3
	s_or_b64 exec, exec, s[60:61]
.LBB4_148:                              ;   in Loop: Header=BB4_66 Depth=3
	s_or_b64 exec, exec, s[26:27]
	ds_write_b64 v46, v[27:28]
	ds_write_b32 v47, v4 offset:4096
	s_waitcnt lgkmcnt(0)
	s_barrier
	s_and_saveexec_b64 s[18:19], s[2:3]
	s_cbranch_execz .LBB4_154
; %bb.149:                              ;   in Loop: Header=BB4_66 Depth=3
	ds_read_b64 v[29:30], v46 offset:1024
	ds_read_b32 v31, v47 offset:4608
	s_waitcnt lgkmcnt(1)
	v_cmp_lt_f64_e64 s[26:27], v[27:28], v[29:30]
	v_cmp_nlt_f64_e32 vcc, v[27:28], v[29:30]
	s_and_saveexec_b64 s[52:53], vcc
	s_cbranch_execz .LBB4_151
; %bb.150:                              ;   in Loop: Header=BB4_66 Depth=3
	v_cmp_eq_f64_e32 vcc, v[27:28], v[29:30]
	s_waitcnt lgkmcnt(0)
	v_cmp_gt_i32_e64 s[16:17], v4, v31
	s_andn2_b64 s[26:27], s[26:27], exec
	s_and_b64 s[16:17], vcc, s[16:17]
	s_and_b64 s[16:17], s[16:17], exec
	s_or_b64 s[26:27], s[26:27], s[16:17]
.LBB4_151:                              ;   in Loop: Header=BB4_66 Depth=3
	s_or_b64 exec, exec, s[52:53]
	s_and_saveexec_b64 s[16:17], s[26:27]
	s_cbranch_execz .LBB4_153
; %bb.152:                              ;   in Loop: Header=BB4_66 Depth=3
	v_mov_b32_e32 v27, v29
	s_waitcnt lgkmcnt(0)
	v_mov_b32_e32 v4, v31
	v_mov_b32_e32 v28, v30
	ds_write_b64 v46, v[29:30]
	ds_write_b32 v47, v31 offset:4096
.LBB4_153:                              ;   in Loop: Header=BB4_66 Depth=3
	s_or_b64 exec, exec, s[16:17]
.LBB4_154:                              ;   in Loop: Header=BB4_66 Depth=3
	s_or_b64 exec, exec, s[18:19]
	s_waitcnt lgkmcnt(0)
	s_barrier
	s_and_saveexec_b64 s[26:27], s[4:5]
	s_cbranch_execz .LBB4_181
; %bb.155:                              ;   in Loop: Header=BB4_66 Depth=3
	ds_read_b64 v[29:30], v46 offset:512
	ds_read_b32 v31, v47 offset:4352
	s_waitcnt lgkmcnt(1)
	v_cmp_lt_f64_e64 s[18:19], v[27:28], v[29:30]
	v_cmp_nlt_f64_e32 vcc, v[27:28], v[29:30]
	s_and_saveexec_b64 s[52:53], vcc
	s_cbranch_execz .LBB4_157
; %bb.156:                              ;   in Loop: Header=BB4_66 Depth=3
	v_cmp_eq_f64_e32 vcc, v[27:28], v[29:30]
	s_waitcnt lgkmcnt(0)
	v_cmp_gt_i32_e64 s[16:17], v4, v31
	s_andn2_b64 s[18:19], s[18:19], exec
	s_and_b64 s[16:17], vcc, s[16:17]
	s_and_b64 s[16:17], s[16:17], exec
	s_or_b64 s[18:19], s[18:19], s[16:17]
.LBB4_157:                              ;   in Loop: Header=BB4_66 Depth=3
	s_or_b64 exec, exec, s[52:53]
	s_and_saveexec_b64 s[16:17], s[18:19]
	s_cbranch_execz .LBB4_159
; %bb.158:                              ;   in Loop: Header=BB4_66 Depth=3
	v_mov_b32_e32 v27, v29
	v_mov_b32_e32 v28, v30
	s_waitcnt lgkmcnt(0)
	v_mov_b32_e32 v4, v31
	ds_write_b64 v46, v[29:30]
	ds_write_b32 v47, v31 offset:4096
.LBB4_159:                              ;   in Loop: Header=BB4_66 Depth=3
	s_or_b64 exec, exec, s[16:17]
	ds_read_b64 v[29:30], v46 offset:256
	s_waitcnt lgkmcnt(1)
	ds_read_b32 v31, v47 offset:4224
	s_waitcnt lgkmcnt(1)
	v_cmp_lt_f64_e64 s[18:19], v[27:28], v[29:30]
	v_cmp_nlt_f64_e32 vcc, v[27:28], v[29:30]
	s_and_saveexec_b64 s[52:53], vcc
	s_cbranch_execz .LBB4_161
; %bb.160:                              ;   in Loop: Header=BB4_66 Depth=3
	v_cmp_eq_f64_e32 vcc, v[27:28], v[29:30]
	s_waitcnt lgkmcnt(0)
	v_cmp_gt_i32_e64 s[16:17], v4, v31
	s_andn2_b64 s[18:19], s[18:19], exec
	s_and_b64 s[16:17], vcc, s[16:17]
	s_and_b64 s[16:17], s[16:17], exec
	s_or_b64 s[18:19], s[18:19], s[16:17]
.LBB4_161:                              ;   in Loop: Header=BB4_66 Depth=3
	s_or_b64 exec, exec, s[52:53]
	s_and_saveexec_b64 s[16:17], s[18:19]
	s_cbranch_execz .LBB4_163
; %bb.162:                              ;   in Loop: Header=BB4_66 Depth=3
	v_mov_b32_e32 v27, v29
	v_mov_b32_e32 v28, v30
	s_waitcnt lgkmcnt(0)
	v_mov_b32_e32 v4, v31
	ds_write_b64 v46, v[29:30]
	ds_write_b32 v47, v31 offset:4096
.LBB4_163:                              ;   in Loop: Header=BB4_66 Depth=3
	s_or_b64 exec, exec, s[16:17]
	ds_read_b64 v[29:30], v46 offset:128
	s_waitcnt lgkmcnt(1)
	;; [unrolled: 29-line block ×6, first 2 shown]
	v_cmp_eq_f64_e32 vcc, v[27:28], v[29:30]
	v_cmp_lt_f64_e64 s[16:17], v[27:28], v[29:30]
	ds_read_b32 v27, v47 offset:4100
	s_waitcnt lgkmcnt(0)
	v_cmp_gt_i32_e64 s[18:19], v4, v27
	s_and_b64 s[18:19], vcc, s[18:19]
	s_or_b64 s[16:17], s[16:17], s[18:19]
	s_and_b64 exec, exec, s[16:17]
	s_cbranch_execz .LBB4_181
; %bb.180:                              ;   in Loop: Header=BB4_66 Depth=3
	ds_write_b64 v46, v[29:30]
	ds_write_b32 v47, v27 offset:4096
.LBB4_181:                              ;   in Loop: Header=BB4_66 Depth=3
	s_or_b64 exec, exec, s[26:27]
	s_waitcnt lgkmcnt(0)
	s_barrier
	ds_read_b64 v[27:28], v51
	s_add_i32 s18, s62, 1
	s_waitcnt lgkmcnt(0)
	v_cmp_ge_f64_e32 vcc, v[27:28], v[17:18]
	v_cndmask_b32_e64 v4, 0, 1, vcc
	v_readfirstlane_b32 s16, v4
	s_add_i32 s51, s51, s16
	s_cmp_lt_u32 s62, 4
	s_cselect_b64 s[26:27], -1, 0
	s_cmp_lt_u32 s51, 2
	s_cselect_b64 s[16:17], -1, 0
	s_and_b64 s[26:27], s[26:27], s[16:17]
	s_and_b64 vcc, exec, s[26:27]
	s_cbranch_vccz .LBB4_183
; %bb.182:                              ;   in Loop: Header=BB4_66 Depth=3
	s_mov_b32 s62, s18
	s_branch .LBB4_66
.LBB4_183:                              ;   in Loop: Header=BB4_22 Depth=2
	s_and_b64 s[18:19], s[80:81], s[16:17]
	s_and_saveexec_b64 s[16:17], s[18:19]
	s_cbranch_execz .LBB4_185
; %bb.184:                              ;   in Loop: Header=BB4_22 Depth=2
	ds_read_b32 v27, v3
	v_readlane_b32 s26, v61, 2
	v_readlane_b32 s27, v61, 3
	s_add_i32 s18, s50, 1
	v_mov_b32_e32 v4, s27
	s_waitcnt lgkmcnt(0)
	v_ashrrev_i32_e32 v28, 31, v27
	v_lshlrev_b64 v[28:29], 2, v[27:28]
	v_mov_b32_e32 v30, s18
	v_add_co_u32_e32 v28, vcc, s26, v28
	v_addc_co_u32_e32 v29, vcc, v4, v29, vcc
	v_add_u32_e32 v4, 1, v27
	global_store_dword v[28:29], v30, off
	ds_write_b32 v3, v4
.LBB4_185:                              ;   in Loop: Header=BB4_22 Depth=2
	s_or_b64 exec, exec, s[16:17]
	v_mov_b32_e32 v27, 0
	v_mov_b32_e32 v28, 0
	v_bfrev_b32_e32 v4, -2
	s_and_saveexec_b64 s[26:27], s[12:13]
	v_readlane_b32 s64, v61, 34
	v_readlane_b32 s62, v61, 27
	;; [unrolled: 1-line block ×3, first 2 shown]
	s_cbranch_execz .LBB4_189
; %bb.186:                              ;   in Loop: Header=BB4_22 Depth=2
	v_mov_b32_e32 v27, 0
	v_mov_b32_e32 v30, v6
	;; [unrolled: 1-line block ×3, first 2 shown]
	v_bfrev_b32_e32 v4, -2
	s_mov_b64 s[38:39], 0
	v_mov_b32_e32 v29, v5
	v_mov_b32_e32 v31, v0
.LBB4_187:                              ;   Parent Loop BB4_12 Depth=1
                                        ;     Parent Loop BB4_22 Depth=2
                                        ; =>    This Inner Loop Header: Depth=3
	global_load_dwordx2 v[32:33], v[29:30], off
	v_add_co_u32_e32 v29, vcc, 0x800, v29
	v_cmp_eq_u32_e64 s[16:17], s55, v4
	v_add_u32_e32 v34, 1, v31
	v_add_u32_e32 v31, 0x100, v31
	v_addc_co_u32_e32 v30, vcc, 0, v30, vcc
	v_cmp_ge_u32_e64 s[18:19], v31, v52
	s_waitcnt vmcnt(0)
	v_cmp_lt_f64_e64 s[52:53], v[27:28], |v[32:33]|
	v_and_b32_e32 v33, 0x7fffffff, v33
	s_or_b64 vcc, s[52:53], s[16:17]
	v_cndmask_b32_e32 v28, v28, v33, vcc
	v_cndmask_b32_e32 v27, v27, v32, vcc
	s_or_b64 s[38:39], s[18:19], s[38:39]
	v_cndmask_b32_e32 v4, v4, v34, vcc
	s_andn2_b64 exec, exec, s[38:39]
	s_cbranch_execnz .LBB4_187
; %bb.188:                              ;   in Loop: Header=BB4_22 Depth=2
	s_or_b64 exec, exec, s[38:39]
.LBB4_189:                              ;   in Loop: Header=BB4_22 Depth=2
	s_or_b64 exec, exec, s[26:27]
	ds_write_b64 v46, v[27:28]
	ds_write_b32 v47, v4 offset:4096
	s_waitcnt vmcnt(0) lgkmcnt(0)
	s_barrier
	s_and_saveexec_b64 s[18:19], s[2:3]
	s_cbranch_execz .LBB4_195
; %bb.190:                              ;   in Loop: Header=BB4_22 Depth=2
	ds_read_b64 v[29:30], v46 offset:1024
	ds_read_b32 v31, v47 offset:4608
	s_waitcnt lgkmcnt(1)
	v_cmp_lt_f64_e64 s[26:27], v[27:28], v[29:30]
	v_cmp_nlt_f64_e32 vcc, v[27:28], v[29:30]
	s_and_saveexec_b64 s[38:39], vcc
	s_cbranch_execz .LBB4_192
; %bb.191:                              ;   in Loop: Header=BB4_22 Depth=2
	v_cmp_eq_f64_e32 vcc, v[27:28], v[29:30]
	s_waitcnt lgkmcnt(0)
	v_cmp_gt_i32_e64 s[16:17], v4, v31
	s_andn2_b64 s[26:27], s[26:27], exec
	s_and_b64 s[16:17], vcc, s[16:17]
	s_and_b64 s[16:17], s[16:17], exec
	s_or_b64 s[26:27], s[26:27], s[16:17]
.LBB4_192:                              ;   in Loop: Header=BB4_22 Depth=2
	s_or_b64 exec, exec, s[38:39]
	s_and_saveexec_b64 s[16:17], s[26:27]
	s_cbranch_execz .LBB4_194
; %bb.193:                              ;   in Loop: Header=BB4_22 Depth=2
	v_mov_b32_e32 v27, v29
	s_waitcnt lgkmcnt(0)
	v_mov_b32_e32 v4, v31
	v_mov_b32_e32 v28, v30
	ds_write_b64 v46, v[29:30]
	ds_write_b32 v47, v31 offset:4096
.LBB4_194:                              ;   in Loop: Header=BB4_22 Depth=2
	s_or_b64 exec, exec, s[16:17]
.LBB4_195:                              ;   in Loop: Header=BB4_22 Depth=2
	s_or_b64 exec, exec, s[18:19]
	s_waitcnt lgkmcnt(0)
	s_barrier
	s_and_saveexec_b64 s[26:27], s[4:5]
	s_cbranch_execz .LBB4_222
; %bb.196:                              ;   in Loop: Header=BB4_22 Depth=2
	ds_read_b64 v[29:30], v46 offset:512
	ds_read_b32 v31, v47 offset:4352
	s_waitcnt lgkmcnt(1)
	v_cmp_lt_f64_e64 s[18:19], v[27:28], v[29:30]
	v_cmp_nlt_f64_e32 vcc, v[27:28], v[29:30]
	s_and_saveexec_b64 s[38:39], vcc
	s_cbranch_execz .LBB4_198
; %bb.197:                              ;   in Loop: Header=BB4_22 Depth=2
	v_cmp_eq_f64_e32 vcc, v[27:28], v[29:30]
	s_waitcnt lgkmcnt(0)
	v_cmp_gt_i32_e64 s[16:17], v4, v31
	s_andn2_b64 s[18:19], s[18:19], exec
	s_and_b64 s[16:17], vcc, s[16:17]
	s_and_b64 s[16:17], s[16:17], exec
	s_or_b64 s[18:19], s[18:19], s[16:17]
.LBB4_198:                              ;   in Loop: Header=BB4_22 Depth=2
	s_or_b64 exec, exec, s[38:39]
	s_and_saveexec_b64 s[16:17], s[18:19]
	s_cbranch_execz .LBB4_200
; %bb.199:                              ;   in Loop: Header=BB4_22 Depth=2
	v_mov_b32_e32 v27, v29
	v_mov_b32_e32 v28, v30
	s_waitcnt lgkmcnt(0)
	v_mov_b32_e32 v4, v31
	ds_write_b64 v46, v[29:30]
	ds_write_b32 v47, v31 offset:4096
.LBB4_200:                              ;   in Loop: Header=BB4_22 Depth=2
	s_or_b64 exec, exec, s[16:17]
	ds_read_b64 v[29:30], v46 offset:256
	s_waitcnt lgkmcnt(1)
	ds_read_b32 v31, v47 offset:4224
	s_waitcnt lgkmcnt(1)
	v_cmp_lt_f64_e64 s[18:19], v[27:28], v[29:30]
	v_cmp_nlt_f64_e32 vcc, v[27:28], v[29:30]
	s_and_saveexec_b64 s[38:39], vcc
	s_cbranch_execz .LBB4_202
; %bb.201:                              ;   in Loop: Header=BB4_22 Depth=2
	v_cmp_eq_f64_e32 vcc, v[27:28], v[29:30]
	s_waitcnt lgkmcnt(0)
	v_cmp_gt_i32_e64 s[16:17], v4, v31
	s_andn2_b64 s[18:19], s[18:19], exec
	s_and_b64 s[16:17], vcc, s[16:17]
	s_and_b64 s[16:17], s[16:17], exec
	s_or_b64 s[18:19], s[18:19], s[16:17]
.LBB4_202:                              ;   in Loop: Header=BB4_22 Depth=2
	s_or_b64 exec, exec, s[38:39]
	s_and_saveexec_b64 s[16:17], s[18:19]
	s_cbranch_execz .LBB4_204
; %bb.203:                              ;   in Loop: Header=BB4_22 Depth=2
	v_mov_b32_e32 v27, v29
	v_mov_b32_e32 v28, v30
	s_waitcnt lgkmcnt(0)
	v_mov_b32_e32 v4, v31
	ds_write_b64 v46, v[29:30]
	ds_write_b32 v47, v31 offset:4096
.LBB4_204:                              ;   in Loop: Header=BB4_22 Depth=2
	s_or_b64 exec, exec, s[16:17]
	ds_read_b64 v[29:30], v46 offset:128
	s_waitcnt lgkmcnt(1)
	;; [unrolled: 29-line block ×6, first 2 shown]
	v_cmp_eq_f64_e32 vcc, v[27:28], v[29:30]
	v_cmp_lt_f64_e64 s[16:17], v[27:28], v[29:30]
	ds_read_b32 v27, v47 offset:4100
	s_waitcnt lgkmcnt(0)
	v_cmp_gt_i32_e64 s[18:19], v4, v27
	s_and_b64 s[18:19], vcc, s[18:19]
	s_or_b64 s[16:17], s[16:17], s[18:19]
	s_and_b64 exec, exec, s[16:17]
	s_cbranch_execz .LBB4_222
; %bb.221:                              ;   in Loop: Header=BB4_22 Depth=2
	ds_write_b64 v46, v[29:30]
	ds_write_b32 v47, v27 offset:4096
.LBB4_222:                              ;   in Loop: Header=BB4_22 Depth=2
	s_or_b64 exec, exec, s[26:27]
	v_mov_b32_e32 v27, 0
	v_mov_b32_e32 v28, 0
	s_and_saveexec_b64 s[18:19], s[12:13]
	s_cbranch_execz .LBB4_226
; %bb.223:                              ;   in Loop: Header=BB4_22 Depth=2
	v_mov_b32_e32 v27, 0
	v_mov_b32_e32 v30, v6
	;; [unrolled: 1-line block ×3, first 2 shown]
	s_mov_b64 s[26:27], 0
	v_mov_b32_e32 v29, v5
	v_mov_b32_e32 v4, v0
.LBB4_224:                              ;   Parent Loop BB4_12 Depth=1
                                        ;     Parent Loop BB4_22 Depth=2
                                        ; =>    This Inner Loop Header: Depth=3
	global_load_dwordx2 v[31:32], v[29:30], off
	v_add_u32_e32 v4, 0x100, v4
	v_add_co_u32_e32 v29, vcc, 0x800, v29
	v_cmp_ge_u32_e64 s[16:17], v4, v52
	s_or_b64 s[26:27], s[16:17], s[26:27]
	v_addc_co_u32_e32 v30, vcc, 0, v30, vcc
	s_waitcnt vmcnt(0)
	v_fma_f64 v[27:28], v[31:32], v[31:32], v[27:28]
	s_andn2_b64 exec, exec, s[26:27]
	s_cbranch_execnz .LBB4_224
; %bb.225:                              ;   in Loop: Header=BB4_22 Depth=2
	s_or_b64 exec, exec, s[26:27]
.LBB4_226:                              ;   in Loop: Header=BB4_22 Depth=2
	s_or_b64 exec, exec, s[18:19]
	v_add_u32_e32 v4, v47, v45
	ds_write_b64 v4, v[27:28] offset:2048
	s_waitcnt lgkmcnt(0)
	s_barrier
	s_and_saveexec_b64 s[16:17], s[2:3]
	s_cbranch_execz .LBB4_228
; %bb.227:                              ;   in Loop: Header=BB4_22 Depth=2
	ds_read_b64 v[29:30], v4 offset:3072
	s_waitcnt lgkmcnt(0)
	v_add_f64 v[27:28], v[27:28], v[29:30]
.LBB4_228:                              ;   in Loop: Header=BB4_22 Depth=2
	s_or_b64 exec, exec, s[16:17]
	s_barrier
	s_and_saveexec_b64 s[16:17], s[2:3]
; %bb.229:                              ;   in Loop: Header=BB4_22 Depth=2
	ds_write_b64 v4, v[27:28] offset:2048
; %bb.230:                              ;   in Loop: Header=BB4_22 Depth=2
	s_or_b64 exec, exec, s[16:17]
	s_waitcnt lgkmcnt(0)
	s_barrier
	s_and_saveexec_b64 s[16:17], s[4:5]
	s_cbranch_execz .LBB4_232
; %bb.231:                              ;   in Loop: Header=BB4_22 Depth=2
	ds_read2st64_b64 v[27:30], v4 offset0:4 offset1:5
	v_add_u32_e32 v31, 0x800, v4
	s_waitcnt lgkmcnt(0)
	v_add_f64 v[27:28], v[27:28], v[29:30]
	ds_write_b64 v4, v[27:28] offset:2048
	s_waitcnt lgkmcnt(0)
	buffer_wbinvl1_vol
	ds_read2_b64 v[27:30], v31 offset1:32
	s_waitcnt lgkmcnt(0)
	v_add_f64 v[27:28], v[27:28], v[29:30]
	ds_write_b64 v4, v[27:28] offset:2048
	s_waitcnt lgkmcnt(0)
	buffer_wbinvl1_vol
	ds_read2_b64 v[27:30], v31 offset1:16
	;; [unrolled: 6-line block ×6, first 2 shown]
	s_waitcnt lgkmcnt(0)
	v_add_f64 v[27:28], v[27:28], v[29:30]
	ds_write_b64 v4, v[27:28] offset:2048
	s_waitcnt lgkmcnt(0)
	buffer_wbinvl1_vol
.LBB4_232:                              ;   in Loop: Header=BB4_22 Depth=2
	s_or_b64 exec, exec, s[16:17]
	s_and_saveexec_b64 s[16:17], s[0:1]
	s_cbranch_execz .LBB4_234
; %bb.233:                              ;   in Loop: Header=BB4_22 Depth=2
	ds_read_b64 v[27:28], v51 offset:2048
	s_mov_b32 s18, 0
	s_brev_b32 s19, 8
	s_waitcnt lgkmcnt(0)
	v_cmp_gt_f64_e32 vcc, s[18:19], v[27:28]
	s_and_b64 s[18:19], vcc, exec
	s_cselect_b32 s18, 0x100, 0
	v_ldexp_f64 v[27:28], v[27:28], s18
	s_cselect_b32 s18, 0xffffff80, 0
	v_rsq_f64_e32 v[29:30], v[27:28]
	v_cmp_class_f64_e32 vcc, v[27:28], v48
	v_mul_f64 v[31:32], v[27:28], v[29:30]
	v_mul_f64 v[29:30], v[29:30], 0.5
	v_fma_f64 v[33:34], -v[29:30], v[31:32], 0.5
	v_fma_f64 v[31:32], v[31:32], v[33:34], v[31:32]
	v_fma_f64 v[29:30], v[29:30], v[33:34], v[29:30]
	v_fma_f64 v[33:34], -v[31:32], v[31:32], v[27:28]
	v_fma_f64 v[31:32], v[33:34], v[29:30], v[31:32]
	v_fma_f64 v[33:34], -v[31:32], v[31:32], v[27:28]
	v_fma_f64 v[29:30], v[33:34], v[29:30], v[31:32]
	v_ldexp_f64 v[29:30], v[29:30], s18
	v_cndmask_b32_e32 v28, v30, v28, vcc
	v_cndmask_b32_e32 v27, v29, v27, vcc
	ds_write_b64 v51, v[27:28] offset:2048
.LBB4_234:                              ;   in Loop: Header=BB4_22 Depth=2
	s_or_b64 exec, exec, s[16:17]
	s_waitcnt lgkmcnt(0)
	s_barrier
	ds_read_b32 v29, v51 offset:4096
	ds_read_b64 v[27:28], v51 offset:2048
	v_mov_b32_e32 v4, s37
	s_waitcnt lgkmcnt(1)
	v_ashrrev_i32_e32 v30, 31, v29
	v_lshlrev_b64 v[29:30], 3, v[29:30]
	v_add_co_u32_e32 v29, vcc, s36, v29
	v_addc_co_u32_e32 v30, vcc, v4, v30, vcc
	global_load_dwordx2 v[29:30], v[29:30], off offset:-8
	s_waitcnt vmcnt(0) lgkmcnt(0)
	s_barrier
	s_and_saveexec_b64 s[16:17], s[8:9]
	s_cbranch_execz .LBB4_237
; %bb.235:                              ;   in Loop: Header=BB4_22 Depth=2
	v_cmp_nle_f64_e32 vcc, 0, v[29:30]
	s_mov_b32 s19, 0xbff00000
	s_mov_b32 s18, s21
	v_mov_b32_e32 v4, v0
	s_and_b64 s[26:27], vcc, exec
	s_cselect_b32 s19, s19, 0x3ff00000
	v_div_scale_f64 v[29:30], s[26:27], v[27:28], v[27:28], s[18:19]
	v_div_scale_f64 v[35:36], vcc, s[18:19], v[27:28], s[18:19]
	v_rcp_f64_e32 v[31:32], v[29:30]
	v_fma_f64 v[33:34], -v[29:30], v[31:32], 1.0
	v_fma_f64 v[31:32], v[31:32], v[33:34], v[31:32]
	v_fma_f64 v[33:34], -v[29:30], v[31:32], 1.0
	v_fma_f64 v[31:32], v[31:32], v[33:34], v[31:32]
	v_mul_f64 v[33:34], v[35:36], v[31:32]
	v_fma_f64 v[29:30], -v[29:30], v[33:34], v[35:36]
	v_div_fmas_f64 v[29:30], v[29:30], v[31:32], v[33:34]
	v_div_fixup_f64 v[27:28], v[29:30], v[27:28], s[18:19]
	v_mov_b32_e32 v30, v6
	s_mov_b64 s[18:19], 0
	v_mov_b32_e32 v29, v5
.LBB4_236:                              ;   Parent Loop BB4_12 Depth=1
                                        ;     Parent Loop BB4_22 Depth=2
                                        ; =>    This Inner Loop Header: Depth=3
	global_load_dwordx2 v[31:32], v[29:30], off
	v_add_u32_e32 v4, 0x100, v4
	v_cmp_lt_i32_e32 vcc, s88, v4
	s_or_b64 s[18:19], vcc, s[18:19]
	s_waitcnt vmcnt(0)
	v_mul_f64 v[31:32], v[27:28], v[31:32]
	global_store_dwordx2 v[29:30], v[31:32], off
	v_add_co_u32_e32 v29, vcc, 0x800, v29
	v_addc_co_u32_e32 v30, vcc, 0, v30, vcc
	s_andn2_b64 exec, exec, s[18:19]
	s_cbranch_execnz .LBB4_236
.LBB4_237:                              ;   in Loop: Header=BB4_22 Depth=2
	s_or_b64 exec, exec, s[16:17]
	s_waitcnt vmcnt(0)
	s_barrier
.LBB4_238:                              ;   in Loop: Header=BB4_22 Depth=2
	s_waitcnt vmcnt(0)
	v_mov_b32_e32 v28, v2
	v_mov_b32_e32 v27, v1
	s_and_saveexec_b64 s[18:19], s[90:91]
	s_cbranch_execz .LBB4_243
; %bb.239:                              ;   in Loop: Header=BB4_22 Depth=2
	s_mov_b64 s[26:27], 0
	v_mov_b32_e32 v29, v0
	s_branch .LBB4_241
.LBB4_240:                              ;   in Loop: Header=BB4_241 Depth=3
	s_or_b64 exec, exec, s[16:17]
	v_add_u32_e32 v30, s11, v29
	v_ashrrev_i32_e32 v31, 31, v30
	v_lshlrev_b64 v[30:31], 4, v[30:31]
	v_mov_b32_e32 v4, s72
	v_add_co_u32_e32 v30, vcc, s56, v30
	v_addc_co_u32_e32 v31, vcc, v4, v31, vcc
	v_add_u32_e32 v29, 0x100, v29
	v_cmp_le_i32_e32 vcc, s54, v29
	v_mov_b32_e32 v4, v3
	s_or_b64 s[26:27], vcc, s[26:27]
	s_waitcnt vmcnt(0)
	global_store_dwordx4 v[30:31], v[1:4], off
	s_andn2_b64 exec, exec, s[26:27]
	s_cbranch_execz .LBB4_243
.LBB4_241:                              ;   Parent Loop BB4_12 Depth=1
                                        ;     Parent Loop BB4_22 Depth=2
                                        ; =>    This Inner Loop Header: Depth=3
	v_cmp_le_i32_e32 vcc, s84, v29
	v_cmp_gt_i32_e64 s[16:17], s86, v29
	v_mov_b32_e32 v1, 0
	v_mov_b32_e32 v2, 0
	s_and_b64 s[38:39], vcc, s[16:17]
	s_and_saveexec_b64 s[16:17], s[38:39]
	s_cbranch_execz .LBB4_240
; %bb.242:                              ;   in Loop: Header=BB4_241 Depth=3
	v_add_u32_e32 v2, s89, v29
	v_lshlrev_b64 v[1:2], 3, v[2:3]
	v_mov_b32_e32 v4, s37
	v_add_co_u32_e32 v1, vcc, s36, v1
	v_addc_co_u32_e32 v2, vcc, v4, v2, vcc
	global_load_dwordx2 v[1:2], v[1:2], off
	s_branch .LBB4_240
.LBB4_243:                              ;   in Loop: Header=BB4_22 Depth=2
	s_or_b64 exec, exec, s[18:19]
	s_add_i32 s10, s10, 1
	s_add_i32 s50, s50, 1
	;; [unrolled: 1-line block ×3, first 2 shown]
	s_cmp_ge_i32 s50, s92
	s_waitcnt vmcnt(0)
	s_barrier
	s_cselect_b64 s[16:17], -1, 0
	s_mov_b32 s18, s7
	s_and_b64 vcc, exec, s[16:17]
	s_cbranch_vccz .LBB4_22
	s_branch .LBB4_10
.LBB4_244:
	s_and_saveexec_b64 s[2:3], s[0:1]
	s_cbranch_execz .LBB4_246
; %bb.245:
	v_mov_b32_e32 v0, 0
	ds_read_b32 v1, v0
	v_readlane_b32 s0, v61, 0
	v_readlane_b32 s1, v61, 1
	s_add_u32 s0, s22, s0
	s_addc_u32 s1, s23, s1
	s_waitcnt lgkmcnt(0)
	s_nop 1
	global_store_dword v0, v1, s[0:1]
.LBB4_246:
	s_endpgm
	.section	.rodata,"a",@progbits
	.p2align	6, 0x0
	.amdhsa_kernel _ZN9rocsolver6v33100L12stein_kernelI19rocblas_complex_numIdEdPS3_EEviPT0_lS6_lPiS6_lS7_lS7_lT1_iilS7_lS7_S6_S7_S5_S5_
		.amdhsa_group_segment_fixed_size 8
		.amdhsa_private_segment_fixed_size 0
		.amdhsa_kernarg_size 176
		.amdhsa_user_sgpr_count 6
		.amdhsa_user_sgpr_private_segment_buffer 1
		.amdhsa_user_sgpr_dispatch_ptr 0
		.amdhsa_user_sgpr_queue_ptr 0
		.amdhsa_user_sgpr_kernarg_segment_ptr 1
		.amdhsa_user_sgpr_dispatch_id 0
		.amdhsa_user_sgpr_flat_scratch_init 0
		.amdhsa_user_sgpr_private_segment_size 0
		.amdhsa_uses_dynamic_stack 0
		.amdhsa_system_sgpr_private_segment_wavefront_offset 0
		.amdhsa_system_sgpr_workgroup_id_x 1
		.amdhsa_system_sgpr_workgroup_id_y 1
		.amdhsa_system_sgpr_workgroup_id_z 0
		.amdhsa_system_sgpr_workgroup_info 0
		.amdhsa_system_vgpr_workitem_id 0
		.amdhsa_next_free_vgpr 62
		.amdhsa_next_free_sgpr 96
		.amdhsa_reserve_vcc 1
		.amdhsa_reserve_flat_scratch 0
		.amdhsa_float_round_mode_32 0
		.amdhsa_float_round_mode_16_64 0
		.amdhsa_float_denorm_mode_32 3
		.amdhsa_float_denorm_mode_16_64 3
		.amdhsa_dx10_clamp 1
		.amdhsa_ieee_mode 1
		.amdhsa_fp16_overflow 0
		.amdhsa_exception_fp_ieee_invalid_op 0
		.amdhsa_exception_fp_denorm_src 0
		.amdhsa_exception_fp_ieee_div_zero 0
		.amdhsa_exception_fp_ieee_overflow 0
		.amdhsa_exception_fp_ieee_underflow 0
		.amdhsa_exception_fp_ieee_inexact 0
		.amdhsa_exception_int_div_zero 0
	.end_amdhsa_kernel
	.section	.text._ZN9rocsolver6v33100L12stein_kernelI19rocblas_complex_numIdEdPS3_EEviPT0_lS6_lPiS6_lS7_lS7_lT1_iilS7_lS7_S6_S7_S5_S5_,"axG",@progbits,_ZN9rocsolver6v33100L12stein_kernelI19rocblas_complex_numIdEdPS3_EEviPT0_lS6_lPiS6_lS7_lS7_lT1_iilS7_lS7_S6_S7_S5_S5_,comdat
.Lfunc_end4:
	.size	_ZN9rocsolver6v33100L12stein_kernelI19rocblas_complex_numIdEdPS3_EEviPT0_lS6_lPiS6_lS7_lS7_lT1_iilS7_lS7_S6_S7_S5_S5_, .Lfunc_end4-_ZN9rocsolver6v33100L12stein_kernelI19rocblas_complex_numIdEdPS3_EEviPT0_lS6_lPiS6_lS7_lS7_lT1_iilS7_lS7_S6_S7_S5_S5_
                                        ; -- End function
	.set _ZN9rocsolver6v33100L12stein_kernelI19rocblas_complex_numIdEdPS3_EEviPT0_lS6_lPiS6_lS7_lS7_lT1_iilS7_lS7_S6_S7_S5_S5_.num_vgpr, 62
	.set _ZN9rocsolver6v33100L12stein_kernelI19rocblas_complex_numIdEdPS3_EEviPT0_lS6_lPiS6_lS7_lS7_lT1_iilS7_lS7_S6_S7_S5_S5_.num_agpr, 0
	.set _ZN9rocsolver6v33100L12stein_kernelI19rocblas_complex_numIdEdPS3_EEviPT0_lS6_lPiS6_lS7_lS7_lT1_iilS7_lS7_S6_S7_S5_S5_.numbered_sgpr, 96
	.set _ZN9rocsolver6v33100L12stein_kernelI19rocblas_complex_numIdEdPS3_EEviPT0_lS6_lPiS6_lS7_lS7_lT1_iilS7_lS7_S6_S7_S5_S5_.num_named_barrier, 0
	.set _ZN9rocsolver6v33100L12stein_kernelI19rocblas_complex_numIdEdPS3_EEviPT0_lS6_lPiS6_lS7_lS7_lT1_iilS7_lS7_S6_S7_S5_S5_.private_seg_size, 0
	.set _ZN9rocsolver6v33100L12stein_kernelI19rocblas_complex_numIdEdPS3_EEviPT0_lS6_lPiS6_lS7_lS7_lT1_iilS7_lS7_S6_S7_S5_S5_.uses_vcc, 1
	.set _ZN9rocsolver6v33100L12stein_kernelI19rocblas_complex_numIdEdPS3_EEviPT0_lS6_lPiS6_lS7_lS7_lT1_iilS7_lS7_S6_S7_S5_S5_.uses_flat_scratch, 0
	.set _ZN9rocsolver6v33100L12stein_kernelI19rocblas_complex_numIdEdPS3_EEviPT0_lS6_lPiS6_lS7_lS7_lT1_iilS7_lS7_S6_S7_S5_S5_.has_dyn_sized_stack, 0
	.set _ZN9rocsolver6v33100L12stein_kernelI19rocblas_complex_numIdEdPS3_EEviPT0_lS6_lPiS6_lS7_lS7_lT1_iilS7_lS7_S6_S7_S5_S5_.has_recursion, 0
	.set _ZN9rocsolver6v33100L12stein_kernelI19rocblas_complex_numIdEdPS3_EEviPT0_lS6_lPiS6_lS7_lS7_lT1_iilS7_lS7_S6_S7_S5_S5_.has_indirect_call, 0
	.section	.AMDGPU.csdata,"",@progbits
; Kernel info:
; codeLenInByte = 10852
; TotalNumSgprs: 100
; NumVgprs: 62
; ScratchSize: 0
; MemoryBound: 1
; FloatMode: 240
; IeeeMode: 1
; LDSByteSize: 8 bytes/workgroup (compile time only)
; SGPRBlocks: 12
; VGPRBlocks: 15
; NumSGPRsForWavesPerEU: 100
; NumVGPRsForWavesPerEU: 62
; Occupancy: 4
; WaveLimiterHint : 1
; COMPUTE_PGM_RSRC2:SCRATCH_EN: 0
; COMPUTE_PGM_RSRC2:USER_SGPR: 6
; COMPUTE_PGM_RSRC2:TRAP_HANDLER: 0
; COMPUTE_PGM_RSRC2:TGID_X_EN: 1
; COMPUTE_PGM_RSRC2:TGID_Y_EN: 1
; COMPUTE_PGM_RSRC2:TGID_Z_EN: 0
; COMPUTE_PGM_RSRC2:TIDIG_COMP_CNT: 0
	.section	.AMDGPU.gpr_maximums,"",@progbits
	.set amdgpu.max_num_vgpr, 0
	.set amdgpu.max_num_agpr, 0
	.set amdgpu.max_num_sgpr, 0
	.section	.AMDGPU.csdata,"",@progbits
	.type	__hip_cuid_77a7f727030d3f87,@object ; @__hip_cuid_77a7f727030d3f87
	.section	.bss,"aw",@nobits
	.globl	__hip_cuid_77a7f727030d3f87
__hip_cuid_77a7f727030d3f87:
	.byte	0                               ; 0x0
	.size	__hip_cuid_77a7f727030d3f87, 1

	.ident	"AMD clang version 22.0.0git (https://github.com/RadeonOpenCompute/llvm-project roc-7.2.4 26084 f58b06dce1f9c15707c5f808fd002e18c2accf7e)"
	.section	".note.GNU-stack","",@progbits
	.addrsig
	.addrsig_sym __hip_cuid_77a7f727030d3f87
	.amdgpu_metadata
---
amdhsa.kernels:
  - .args:
      - .address_space:  global
        .offset:         0
        .size:           8
        .value_kind:     global_buffer
      - .offset:         8
        .size:           4
        .value_kind:     by_value
      - .offset:         12
        .size:           4
        .value_kind:     by_value
      - .offset:         16
        .size:           4
        .value_kind:     by_value
      - .offset:         24
        .size:           4
        .value_kind:     hidden_block_count_x
      - .offset:         28
        .size:           4
        .value_kind:     hidden_block_count_y
      - .offset:         32
        .size:           4
        .value_kind:     hidden_block_count_z
      - .offset:         36
        .size:           2
        .value_kind:     hidden_group_size_x
      - .offset:         38
        .size:           2
        .value_kind:     hidden_group_size_y
      - .offset:         40
        .size:           2
        .value_kind:     hidden_group_size_z
      - .offset:         42
        .size:           2
        .value_kind:     hidden_remainder_x
      - .offset:         44
        .size:           2
        .value_kind:     hidden_remainder_y
      - .offset:         46
        .size:           2
        .value_kind:     hidden_remainder_z
      - .offset:         64
        .size:           8
        .value_kind:     hidden_global_offset_x
      - .offset:         72
        .size:           8
        .value_kind:     hidden_global_offset_y
      - .offset:         80
        .size:           8
        .value_kind:     hidden_global_offset_z
      - .offset:         88
        .size:           2
        .value_kind:     hidden_grid_dims
    .group_segment_fixed_size: 0
    .kernarg_segment_align: 8
    .kernarg_segment_size: 280
    .language:       OpenCL C
    .language_version:
      - 2
      - 0
    .max_flat_workgroup_size: 1024
    .name:           _ZN9rocsolver6v33100L10reset_infoIiiiEEvPT_T0_T1_S4_
    .private_segment_fixed_size: 0
    .sgpr_count:     12
    .sgpr_spill_count: 0
    .symbol:         _ZN9rocsolver6v33100L10reset_infoIiiiEEvPT_T0_T1_S4_.kd
    .uniform_work_group_size: 1
    .uses_dynamic_stack: false
    .vgpr_count:     4
    .vgpr_spill_count: 0
    .wavefront_size: 64
  - .args:
      - .offset:         0
        .size:           4
        .value_kind:     by_value
      - .address_space:  global
        .offset:         8
        .size:           8
        .value_kind:     global_buffer
      - .offset:         16
        .size:           8
        .value_kind:     by_value
      - .address_space:  global
        .offset:         24
        .size:           8
        .value_kind:     global_buffer
      - .offset:         32
        .size:           8
        .value_kind:     by_value
      - .address_space:  global
        .offset:         40
        .size:           8
        .value_kind:     global_buffer
      - .address_space:  global
        .offset:         48
        .size:           8
        .value_kind:     global_buffer
      - .offset:         56
        .size:           8
        .value_kind:     by_value
      - .address_space:  global
        .offset:         64
        .size:           8
        .value_kind:     global_buffer
      - .offset:         72
        .size:           8
        .value_kind:     by_value
      - .address_space:  global
        .offset:         80
        .size:           8
        .value_kind:     global_buffer
      - .offset:         88
        .size:           8
        .value_kind:     by_value
      - .address_space:  global
        .offset:         96
        .size:           8
        .value_kind:     global_buffer
      - .offset:         104
        .size:           4
        .value_kind:     by_value
      - .offset:         108
        .size:           4
        .value_kind:     by_value
      - .offset:         112
        .size:           8
        .value_kind:     by_value
      - .address_space:  global
        .offset:         120
        .size:           8
        .value_kind:     global_buffer
      - .offset:         128
        .size:           8
        .value_kind:     by_value
      - .address_space:  global
        .offset:         136
        .size:           8
        .value_kind:     global_buffer
      - .address_space:  global
        .offset:         144
        .size:           8
        .value_kind:     global_buffer
      - .address_space:  global
        .offset:         152
        .size:           8
        .value_kind:     global_buffer
      - .offset:         160
        .size:           4
        .value_kind:     by_value
      - .offset:         164
        .size:           4
        .value_kind:     by_value
    .group_segment_fixed_size: 8
    .kernarg_segment_align: 8
    .kernarg_segment_size: 168
    .language:       OpenCL C
    .language_version:
      - 2
      - 0
    .max_flat_workgroup_size: 256
    .name:           _ZN9rocsolver6v33100L12stein_kernelIffPfEEviPT0_lS4_lPiS4_lS5_lS5_lT1_iilS5_lS5_S4_S5_S3_S3_
    .private_segment_fixed_size: 0
    .sgpr_count:     100
    .sgpr_spill_count: 28
    .symbol:         _ZN9rocsolver6v33100L12stein_kernelIffPfEEviPT0_lS4_lPiS4_lS5_lS5_lT1_iilS5_lS5_S4_S5_S3_S3_.kd
    .uniform_work_group_size: 1
    .uses_dynamic_stack: false
    .vgpr_count:     42
    .vgpr_spill_count: 0
    .wavefront_size: 64
  - .args:
      - .offset:         0
        .size:           4
        .value_kind:     by_value
      - .address_space:  global
        .offset:         8
        .size:           8
        .value_kind:     global_buffer
      - .offset:         16
        .size:           8
        .value_kind:     by_value
      - .address_space:  global
        .offset:         24
        .size:           8
        .value_kind:     global_buffer
      - .offset:         32
        .size:           8
        .value_kind:     by_value
      - .address_space:  global
        .offset:         40
        .size:           8
        .value_kind:     global_buffer
      - .address_space:  global
        .offset:         48
        .size:           8
        .value_kind:     global_buffer
      - .offset:         56
        .size:           8
        .value_kind:     by_value
      - .address_space:  global
        .offset:         64
        .size:           8
        .value_kind:     global_buffer
      - .offset:         72
        .size:           8
        .value_kind:     by_value
      - .address_space:  global
        .offset:         80
        .size:           8
        .value_kind:     global_buffer
      - .offset:         88
        .size:           8
        .value_kind:     by_value
      - .address_space:  global
        .offset:         96
        .size:           8
        .value_kind:     global_buffer
      - .offset:         104
        .size:           4
        .value_kind:     by_value
      - .offset:         108
        .size:           4
        .value_kind:     by_value
      - .offset:         112
        .size:           8
        .value_kind:     by_value
      - .address_space:  global
        .offset:         120
        .size:           8
        .value_kind:     global_buffer
      - .offset:         128
        .size:           8
        .value_kind:     by_value
      - .address_space:  global
        .offset:         136
        .size:           8
        .value_kind:     global_buffer
      - .address_space:  global
        .offset:         144
        .size:           8
        .value_kind:     global_buffer
      - .address_space:  global
        .offset:         152
        .size:           8
        .value_kind:     global_buffer
      - .offset:         160
        .size:           8
        .value_kind:     by_value
      - .offset:         168
        .size:           8
        .value_kind:     by_value
    .group_segment_fixed_size: 8
    .kernarg_segment_align: 8
    .kernarg_segment_size: 176
    .language:       OpenCL C
    .language_version:
      - 2
      - 0
    .max_flat_workgroup_size: 256
    .name:           _ZN9rocsolver6v33100L12stein_kernelIddPdEEviPT0_lS4_lPiS4_lS5_lS5_lT1_iilS5_lS5_S4_S5_S3_S3_
    .private_segment_fixed_size: 0
    .sgpr_count:     100
    .sgpr_spill_count: 38
    .symbol:         _ZN9rocsolver6v33100L12stein_kernelIddPdEEviPT0_lS4_lPiS4_lS5_lS5_lT1_iilS5_lS5_S4_S5_S3_S3_.kd
    .uniform_work_group_size: 1
    .uses_dynamic_stack: false
    .vgpr_count:     62
    .vgpr_spill_count: 0
    .wavefront_size: 64
  - .args:
      - .offset:         0
        .size:           4
        .value_kind:     by_value
      - .address_space:  global
        .offset:         8
        .size:           8
        .value_kind:     global_buffer
      - .offset:         16
        .size:           8
        .value_kind:     by_value
      - .address_space:  global
        .offset:         24
        .size:           8
        .value_kind:     global_buffer
      - .offset:         32
        .size:           8
        .value_kind:     by_value
      - .address_space:  global
        .offset:         40
        .size:           8
        .value_kind:     global_buffer
      - .address_space:  global
        .offset:         48
        .size:           8
        .value_kind:     global_buffer
      - .offset:         56
        .size:           8
        .value_kind:     by_value
      - .address_space:  global
        .offset:         64
        .size:           8
        .value_kind:     global_buffer
      - .offset:         72
        .size:           8
        .value_kind:     by_value
      - .address_space:  global
        .offset:         80
        .size:           8
        .value_kind:     global_buffer
      - .offset:         88
        .size:           8
        .value_kind:     by_value
      - .address_space:  global
        .offset:         96
        .size:           8
        .value_kind:     global_buffer
      - .offset:         104
        .size:           4
        .value_kind:     by_value
      - .offset:         108
        .size:           4
        .value_kind:     by_value
      - .offset:         112
        .size:           8
        .value_kind:     by_value
      - .address_space:  global
        .offset:         120
        .size:           8
        .value_kind:     global_buffer
      - .offset:         128
        .size:           8
        .value_kind:     by_value
      - .address_space:  global
        .offset:         136
        .size:           8
        .value_kind:     global_buffer
      - .address_space:  global
        .offset:         144
        .size:           8
        .value_kind:     global_buffer
      - .address_space:  global
        .offset:         152
        .size:           8
        .value_kind:     global_buffer
      - .offset:         160
        .size:           4
        .value_kind:     by_value
      - .offset:         164
        .size:           4
        .value_kind:     by_value
    .group_segment_fixed_size: 8
    .kernarg_segment_align: 8
    .kernarg_segment_size: 168
    .language:       OpenCL C
    .language_version:
      - 2
      - 0
    .max_flat_workgroup_size: 256
    .name:           _ZN9rocsolver6v33100L12stein_kernelI19rocblas_complex_numIfEfPS3_EEviPT0_lS6_lPiS6_lS7_lS7_lT1_iilS7_lS7_S6_S7_S5_S5_
    .private_segment_fixed_size: 0
    .sgpr_count:     100
    .sgpr_spill_count: 28
    .symbol:         _ZN9rocsolver6v33100L12stein_kernelI19rocblas_complex_numIfEfPS3_EEviPT0_lS6_lPiS6_lS7_lS7_lT1_iilS7_lS7_S6_S7_S5_S5_.kd
    .uniform_work_group_size: 1
    .uses_dynamic_stack: false
    .vgpr_count:     42
    .vgpr_spill_count: 0
    .wavefront_size: 64
  - .args:
      - .offset:         0
        .size:           4
        .value_kind:     by_value
      - .address_space:  global
        .offset:         8
        .size:           8
        .value_kind:     global_buffer
      - .offset:         16
        .size:           8
        .value_kind:     by_value
      - .address_space:  global
        .offset:         24
        .size:           8
        .value_kind:     global_buffer
      - .offset:         32
        .size:           8
        .value_kind:     by_value
      - .address_space:  global
        .offset:         40
        .size:           8
        .value_kind:     global_buffer
      - .address_space:  global
        .offset:         48
        .size:           8
        .value_kind:     global_buffer
      - .offset:         56
        .size:           8
        .value_kind:     by_value
      - .address_space:  global
        .offset:         64
        .size:           8
        .value_kind:     global_buffer
      - .offset:         72
        .size:           8
        .value_kind:     by_value
      - .address_space:  global
        .offset:         80
        .size:           8
        .value_kind:     global_buffer
      - .offset:         88
        .size:           8
        .value_kind:     by_value
      - .address_space:  global
        .offset:         96
        .size:           8
        .value_kind:     global_buffer
      - .offset:         104
        .size:           4
        .value_kind:     by_value
      - .offset:         108
        .size:           4
        .value_kind:     by_value
      - .offset:         112
        .size:           8
        .value_kind:     by_value
      - .address_space:  global
        .offset:         120
        .size:           8
        .value_kind:     global_buffer
      - .offset:         128
        .size:           8
        .value_kind:     by_value
      - .address_space:  global
        .offset:         136
        .size:           8
        .value_kind:     global_buffer
      - .address_space:  global
        .offset:         144
        .size:           8
        .value_kind:     global_buffer
      - .address_space:  global
        .offset:         152
        .size:           8
        .value_kind:     global_buffer
      - .offset:         160
        .size:           8
        .value_kind:     by_value
      - .offset:         168
        .size:           8
        .value_kind:     by_value
    .group_segment_fixed_size: 8
    .kernarg_segment_align: 8
    .kernarg_segment_size: 176
    .language:       OpenCL C
    .language_version:
      - 2
      - 0
    .max_flat_workgroup_size: 256
    .name:           _ZN9rocsolver6v33100L12stein_kernelI19rocblas_complex_numIdEdPS3_EEviPT0_lS6_lPiS6_lS7_lS7_lT1_iilS7_lS7_S6_S7_S5_S5_
    .private_segment_fixed_size: 0
    .sgpr_count:     100
    .sgpr_spill_count: 38
    .symbol:         _ZN9rocsolver6v33100L12stein_kernelI19rocblas_complex_numIdEdPS3_EEviPT0_lS6_lPiS6_lS7_lS7_lT1_iilS7_lS7_S6_S7_S5_S5_.kd
    .uniform_work_group_size: 1
    .uses_dynamic_stack: false
    .vgpr_count:     62
    .vgpr_spill_count: 0
    .wavefront_size: 64
amdhsa.target:   amdgcn-amd-amdhsa--gfx906
amdhsa.version:
  - 1
  - 2
...

	.end_amdgpu_metadata
